;; amdgpu-corpus repo=ROCm/rocSOLVER kind=compiled arch=gfx1250 opt=O3
	.amdgcn_target "amdgcn-amd-amdhsa--gfx1250"
	.amdhsa_code_object_version 6
	.section	.text._ZN9rocsolver6v33100L22larf_left_kernel_smallILi64E19rocblas_complex_numIfEiPS3_EEvT1_S5_T2_lS5_lPKT0_lS6_lS5_l,"axG",@progbits,_ZN9rocsolver6v33100L22larf_left_kernel_smallILi64E19rocblas_complex_numIfEiPS3_EEvT1_S5_T2_lS5_lPKT0_lS6_lS5_l,comdat
	.globl	_ZN9rocsolver6v33100L22larf_left_kernel_smallILi64E19rocblas_complex_numIfEiPS3_EEvT1_S5_T2_lS5_lPKT0_lS6_lS5_l ; -- Begin function _ZN9rocsolver6v33100L22larf_left_kernel_smallILi64E19rocblas_complex_numIfEiPS3_EEvT1_S5_T2_lS5_lPKT0_lS6_lS5_l
	.p2align	8
	.type	_ZN9rocsolver6v33100L22larf_left_kernel_smallILi64E19rocblas_complex_numIfEiPS3_EEvT1_S5_T2_lS5_lPKT0_lS6_lS5_l,@function
_ZN9rocsolver6v33100L22larf_left_kernel_smallILi64E19rocblas_complex_numIfEiPS3_EEvT1_S5_T2_lS5_lPKT0_lS6_lS5_l: ; @_ZN9rocsolver6v33100L22larf_left_kernel_smallILi64E19rocblas_complex_numIfEiPS3_EEvT1_S5_T2_lS5_lPKT0_lS6_lS5_l
; %bb.0:
	s_clause 0x2
	s_load_b64 s[12:13], s[0:1], 0x0
	s_load_b256 s[4:11], s[0:1], 0x20
	s_load_b64 s[16:17], s[0:1], 0x40
	s_bfe_u32 s2, ttmp6, 0x4000c
	s_and_b32 s14, ttmp6, 15
	s_add_co_i32 s2, s2, 1
	s_getreg_b32 s3, hwreg(HW_REG_IB_STS2, 6, 4)
	s_mul_i32 s2, ttmp9, s2
	v_lshlrev_b32_e32 v2, 3, v0
	s_add_co_i32 s14, s14, s2
	s_cmp_eq_u32 s3, 0
	s_mov_b32 s18, 0
	s_cselect_b32 s14, ttmp9, s14
	s_delay_alu instid0(SALU_CYCLE_1)
	s_ashr_i32 s15, s14, 31
	s_wait_kmcnt 0x0
	v_cmp_gt_i32_e64 s2, s12, v0
	s_and_saveexec_b32 s19, s2
	s_cbranch_execz .LBB0_3
; %bb.1:
	s_clause 0x1
	s_load_b128 s[20:23], s[0:1], 0x8
	s_load_b32 s24, s[0:1], 0x18
	s_mul_u64 s[4:5], s[4:5], s[14:15]
	s_sub_co_i32 s25, 1, s12
	s_lshl_b64 s[4:5], s[4:5], 3
	v_dual_mov_b32 v4, v0 :: v_dual_lshlrev_b32 v3, 3, v0
	s_wait_kmcnt 0x0
	s_lshl_b64 s[22:23], s[22:23], 3
	s_mul_i32 s25, s24, s25
	s_cmp_lt_i32 s24, 1
	s_add_nc_u64 s[4:5], s[20:21], s[4:5]
	s_cselect_b32 s25, s25, 0
	s_add_nc_u64 s[4:5], s[4:5], s[22:23]
	v_mad_u32 v1, v0, s24, s25
	s_lshl_b32 s20, s24, 6
.LBB0_2:                                ; =>This Inner Loop Header: Depth=1
	global_load_b64 v[6:7], v1, s[4:5] scale_offset
	s_wait_xcnt 0x0
	v_dual_add_nc_u32 v4, 64, v4 :: v_dual_add_nc_u32 v1, s20, v1
	s_delay_alu instid0(VALU_DEP_1)
	v_cmp_le_i32_e32 vcc_lo, s12, v4
	s_or_b32 s18, vcc_lo, s18
	s_wait_loadcnt 0x0
	ds_store_b64 v3, v[6:7]
	v_add_nc_u32_e32 v3, 0x200, v3
	s_and_not1_b32 exec_lo, exec_lo, s18
	s_cbranch_execnz .LBB0_2
.LBB0_3:
	s_or_b32 exec_lo, exec_lo, s19
	s_bfe_u32 s4, ttmp6, 0x40010
	s_bfe_u32 s5, ttmp6, 0x40004
	s_add_co_i32 s4, s4, 1
	s_wait_dscnt 0x0
	s_mul_i32 s4, ttmp7, s4
	s_barrier_signal -1
	s_add_co_i32 s5, s5, s4
	s_cmp_eq_u32 s3, 0
	s_barrier_wait -1
	s_cselect_b32 s20, ttmp7, s5
	s_delay_alu instid0(SALU_CYCLE_1)
	s_cmp_ge_i32 s20, s13
	s_cbranch_scc1 .LBB0_37
; %bb.4:
	v_xad_u32 v3, v0, -1, s12
	s_clause 0x1
	s_load_b64 s[18:19], s[0:1], 0x50
	s_load_b32 s21, s[0:1], 0x48
	s_mul_u64 s[4:5], s[8:9], s[14:15]
	s_lshl_b64 s[16:17], s[16:17], 3
	v_dual_lshrrev_b32 v1, 6, v3 :: v_dual_bitop2_b32 v4, 31, v0 bitop3:0x40
	v_lshrrev_b32_e32 v6, 2, v0
	s_lshl_b64 s[4:5], s[4:5], 3
	v_cmp_lt_u32_e64 s3, 63, v3
	s_delay_alu instid0(VALU_DEP_3)
	v_dual_add_nc_u32 v5, -1, v1 :: v_dual_add_nc_u32 v7, 1, v1
	v_or_b32_e32 v1, 64, v0
	s_wait_xcnt 0x0
	v_cmp_eq_u32_e64 s1, 0, v4
	s_add_nc_u64 s[8:9], s[6:7], s[4:5]
	v_lshrrev_b32_e32 v4, 1, v5
	v_and_b32_e32 v8, 0x7fffffe, v7
	v_mbcnt_lo_u32_b32 v17, -1, 0
	v_cmp_lt_u32_e64 s4, 5, v5
	v_cmp_eq_u32_e64 s0, 0, v0
	v_or_b32_e32 v19, 0x4000, v6
	v_lshl_or_b32 v14, v8, 6, v0
	v_add_nc_u32_e32 v3, 1, v4
	s_wait_kmcnt 0x0
	s_mul_u64 s[6:7], s[18:19], s[14:15]
	v_lshl_or_b32 v18, v17, 2, 64
	s_lshl_b64 s[6:7], s[6:7], 3
	v_dual_lshlrev_b32 v20, 3, v14 :: v_dual_bitop2_b32 v15, 3, v3 bitop3:0x40
	v_dual_mov_b32 v3, 0 :: v_dual_bitop2_b32 v16, -4, v3 bitop3:0x40
	s_add_nc_u64 s[14:15], s[10:11], s[6:7]
	s_add_nc_u64 s[6:7], s[6:7], s[16:17]
	s_delay_alu instid0(VALU_DEP_2)
	v_cmp_ne_u32_e64 s5, 0, v15
	s_add_nc_u64 s[10:11], s[10:11], s[6:7]
	v_cmp_ne_u32_e64 s6, v7, v8
	v_add_nc_u64_e32 v[4:5], s[10:11], v[2:3]
	s_cmp_gt_i32 s12, 1
	s_add_nc_u64 s[14:15], s[14:15], s[16:17]
	s_cselect_b32 s7, -1, 0
	s_mul_i32 s16, s20, s21
	s_lshl_b32 s22, s21, 6
	s_branch .LBB0_6
.LBB0_5:                                ;   in Loop: Header=BB0_6 Depth=1
	s_or_b32 exec_lo, exec_lo, s17
	s_add_co_i32 s20, s20, 64
	s_add_co_i32 s16, s16, s22
	s_cmp_ge_i32 s20, s13
	s_cbranch_scc1 .LBB0_37
.LBB0_6:                                ; =>This Loop Header: Depth=1
                                        ;     Child Loop BB0_8 Depth 2
                                        ;     Child Loop BB0_26 Depth 2
	;; [unrolled: 1-line block ×4, first 2 shown]
	v_mov_b64_e32 v[6:7], 0
	s_ashr_i32 s17, s16, 31
	s_delay_alu instid0(SALU_CYCLE_1)
	s_lshl_b64 s[18:19], s[16:17], 3
	s_and_saveexec_b32 s17, s2
	s_cbranch_execz .LBB0_10
; %bb.7:                                ;   in Loop: Header=BB0_6 Depth=1
	v_dual_mov_b32 v6, 0 :: v_dual_mov_b32 v10, v2
	v_add_nc_u64_e32 v[8:9], s[18:19], v[4:5]
	v_mov_b32_e32 v11, v0
	s_mov_b32 s23, 0
	s_delay_alu instid0(VALU_DEP_3)
	v_mov_b32_e32 v7, v6
.LBB0_8:                                ;   Parent Loop BB0_6 Depth=1
                                        ; =>  This Inner Loop Header: Depth=2
	global_load_b64 v[12:13], v[8:9], off
	ds_load_b64 v[22:23], v10
	s_wait_xcnt 0x0
	v_add_nc_u64_e32 v[8:9], 0x200, v[8:9]
	v_add_nc_u32_e32 v11, 64, v11
	v_add_nc_u32_e32 v10, 0x200, v10
	s_delay_alu instid0(VALU_DEP_2)
	v_cmp_le_i32_e32 vcc_lo, s12, v11
	s_or_b32 s23, vcc_lo, s23
	s_wait_dscnt 0x0
	v_mov_b32_e32 v26, v23
	s_wait_loadcnt 0x0
	v_pk_mul_f32 v[24:25], v[12:13], v[22:23] op_sel_hi:[1,0]
	s_delay_alu instid0(VALU_DEP_1) | instskip(NEXT) | instid1(VALU_DEP_3)
	v_pk_fma_f32 v[22:23], v[12:13], v[22:23], v[24:25] op_sel:[1,1,0] op_sel_hi:[0,1,1] neg_lo:[0,0,1] neg_hi:[0,0,1]
	v_pk_fma_f32 v[12:13], v[12:13], v[26:27], v[24:25] op_sel:[1,0,0] op_sel_hi:[0,1,1]
	s_delay_alu instid0(VALU_DEP_2) | instskip(NEXT) | instid1(VALU_DEP_1)
	v_mov_b32_e32 v13, v23
	v_pk_add_f32 v[6:7], v[6:7], v[12:13]
	s_and_not1_b32 exec_lo, exec_lo, s23
	s_cbranch_execnz .LBB0_8
; %bb.9:                                ;   in Loop: Header=BB0_6 Depth=1
	s_or_b32 exec_lo, exec_lo, s23
.LBB0_10:                               ;   in Loop: Header=BB0_6 Depth=1
	s_delay_alu instid0(SALU_CYCLE_1) | instskip(NEXT) | instid1(SALU_CYCLE_1)
	s_or_b32 exec_lo, exec_lo, s17
	s_and_b32 vcc_lo, exec_lo, s7
	s_cbranch_vccz .LBB0_17
; %bb.11:                               ;   in Loop: Header=BB0_6 Depth=1
	v_cmp_ne_u32_e32 vcc_lo, 31, v17
	v_add_co_ci_u32_e64 v8, null, 0, v17, vcc_lo
	v_cmp_gt_u32_e32 vcc_lo, 30, v17
	s_delay_alu instid0(VALU_DEP_2)
	v_lshlrev_b32_e32 v9, 2, v8
	v_cndmask_b32_e64 v10, 0, 2, vcc_lo
	v_cmp_gt_u32_e32 vcc_lo, 28, v17
	ds_bpermute_b32 v8, v9, v6
	ds_bpermute_b32 v9, v9, v7
	v_add_lshl_u32 v11, v10, v17, 2
	v_cndmask_b32_e64 v12, 0, 4, vcc_lo
	v_cmp_gt_u32_e32 vcc_lo, 24, v17
	s_delay_alu instid0(VALU_DEP_2)
	v_add_lshl_u32 v12, v12, v17, 2
	s_wait_dscnt 0x0
	v_pk_add_f32 v[8:9], v[6:7], v[8:9]
	ds_bpermute_b32 v10, v11, v8
	ds_bpermute_b32 v11, v11, v9
	s_wait_dscnt 0x0
	v_pk_add_f32 v[8:9], v[8:9], v[10:11]
	ds_bpermute_b32 v10, v12, v8
	ds_bpermute_b32 v11, v12, v9
	v_cndmask_b32_e64 v12, 0, 8, vcc_lo
	s_delay_alu instid0(VALU_DEP_1)
	v_add_lshl_u32 v12, v12, v17, 2
	s_wait_dscnt 0x0
	v_pk_add_f32 v[8:9], v[8:9], v[10:11]
	ds_bpermute_b32 v10, v12, v8
	ds_bpermute_b32 v11, v12, v9
	s_wait_dscnt 0x0
	v_pk_add_f32 v[8:9], v[8:9], v[10:11]
	ds_bpermute_b32 v10, v18, v8
	ds_bpermute_b32 v11, v18, v9
	s_wait_dscnt 0x0
	v_pk_add_f32 v[10:11], v[8:9], v[10:11]
	s_and_saveexec_b32 s17, s1
; %bb.12:                               ;   in Loop: Header=BB0_6 Depth=1
	ds_store_2addr_b32 v19, v10, v11 offset1:1
; %bb.13:                               ;   in Loop: Header=BB0_6 Depth=1
	s_or_b32 exec_lo, exec_lo, s17
	s_mov_b32 s23, 0
	s_mov_b32 s17, 0
	s_wait_dscnt 0x0
	s_barrier_signal -1
	s_barrier_wait -1
                                        ; implicit-def: $vgpr8_vgpr9
	s_and_saveexec_b32 s24, s0
	s_delay_alu instid0(SALU_CYCLE_1)
	s_xor_b32 s24, exec_lo, s24
	s_cbranch_execz .LBB0_15
; %bb.14:                               ;   in Loop: Header=BB0_6 Depth=1
	ds_load_b64 v[8:9], v3 offset:16392
	s_mov_b32 s17, exec_lo
	s_wait_dscnt 0x0
	v_pk_add_f32 v[8:9], v[10:11], v[8:9]
.LBB0_15:                               ;   in Loop: Header=BB0_6 Depth=1
	s_or_b32 exec_lo, exec_lo, s24
	s_delay_alu instid0(SALU_CYCLE_1)
	s_and_b32 vcc_lo, exec_lo, s23
	s_cbranch_vccnz .LBB0_18
.LBB0_16:                               ;   in Loop: Header=BB0_6 Depth=1
	s_delay_alu instid0(VALU_DEP_1)
	v_mov_b64_e32 v[6:7], v[8:9]
	s_and_saveexec_b32 s23, s17
	s_cbranch_execnz .LBB0_19
	s_branch .LBB0_20
.LBB0_17:                               ;   in Loop: Header=BB0_6 Depth=1
	s_mov_b32 s17, 0
                                        ; implicit-def: $vgpr8_vgpr9
	s_cbranch_execz .LBB0_16
.LBB0_18:                               ;   in Loop: Header=BB0_6 Depth=1
	s_and_not1_b32 s17, s17, exec_lo
	s_and_b32 s23, s0, exec_lo
	s_delay_alu instid0(SALU_CYCLE_1) | instskip(NEXT) | instid1(SALU_CYCLE_1)
	s_or_b32 s17, s17, s23
	s_and_saveexec_b32 s23, s17
.LBB0_19:                               ;   in Loop: Header=BB0_6 Depth=1
	ds_store_b64 v3, v[6:7] offset:16384
.LBB0_20:                               ;   in Loop: Header=BB0_6 Depth=1
	s_or_b32 exec_lo, exec_lo, s23
	s_wait_dscnt 0x0
	s_barrier_signal -1
	s_barrier_wait -1
	s_and_saveexec_b32 s17, s2
	s_cbranch_execz .LBB0_5
; %bb.21:                               ;   in Loop: Header=BB0_6 Depth=1
	global_load_b64 v[10:11], v3, s[8:9]
	ds_load_b64 v[12:13], v3 offset:16384
	s_mov_b32 s24, 0
                                        ; implicit-def: $vgpr21
	s_wait_loadcnt_dscnt 0x0
	v_dual_mul_f32 v6, v11, v13 :: v_dual_mul_f32 v7, v11, v12
	v_xor_b32_e32 v9, 0x80000000, v10
	s_delay_alu instid0(VALU_DEP_2) | instskip(NEXT) | instid1(VALU_DEP_3)
	v_xor_b32_e32 v6, 0x80000000, v6
	v_xor_b32_e32 v8, 0x80000000, v7
	s_delay_alu instid0(VALU_DEP_2) | instskip(NEXT) | instid1(VALU_DEP_2)
	v_fmac_f32_e32 v6, v12, v9
	v_fmac_f32_e32 v8, v10, v13
	s_wait_xcnt 0x0
	s_and_saveexec_b32 s23, s3
	s_delay_alu instid0(SALU_CYCLE_1)
	s_xor_b32 s23, exec_lo, s23
	s_cbranch_execnz .LBB0_24
; %bb.22:                               ;   in Loop: Header=BB0_6 Depth=1
	s_or_saveexec_b32 s23, s23
	v_mov_b32_e32 v10, v14
	s_xor_b32 exec_lo, exec_lo, s23
	s_cbranch_execnz .LBB0_34
.LBB0_23:                               ;   in Loop: Header=BB0_6 Depth=1
	s_or_b32 exec_lo, exec_lo, s23
	s_delay_alu instid0(SALU_CYCLE_1)
	s_and_b32 exec_lo, exec_lo, s24
	s_cbranch_execz .LBB0_5
	s_branch .LBB0_35
.LBB0_24:                               ;   in Loop: Header=BB0_6 Depth=1
	v_mov_b64_e32 v[10:11], v[0:1]
	v_dual_mov_b32 v7, v6 :: v_dual_mov_b32 v9, v8
	v_mov_b32_e32 v21, 0
	s_mul_i32 s24, s20, s21
	s_and_saveexec_b32 s25, s4
	s_cbranch_execz .LBB0_28
; %bb.25:                               ;   in Loop: Header=BB0_6 Depth=1
	v_mov_b64_e32 v[10:11], v[0:1]
	v_dual_mov_b32 v12, v16 :: v_dual_mov_b32 v13, v2
	s_add_co_i32 s26, s24, 0x80
	s_add_co_i32 s27, s24, 0x100
	;; [unrolled: 1-line block ×3, first 2 shown]
	s_mov_b32 s28, s26
	s_mov_b32 s29, s27
	;; [unrolled: 1-line block ×5, first 2 shown]
.LBB0_26:                               ;   Parent Loop BB0_6 Depth=1
                                        ; =>  This Inner Loop Header: Depth=2
	v_dual_add_nc_u32 v21, s24, v10 :: v_dual_add_nc_u32 v36, s24, v11
	v_dual_add_nc_u32 v37, s28, v11 :: v_dual_add_nc_u32 v38, s26, v10
	s_add_co_i32 s34, s34, 8
	s_clause 0x1
	global_load_b64 v[30:31], v21, s[14:15] scale_offset
	global_load_b64 v[32:33], v36, s[14:15] scale_offset
	ds_load_2addr_stride64_b64 v[22:25], v13 offset1:1
	ds_load_2addr_stride64_b64 v[26:29], v13 offset0:2 offset1:3
	s_wait_dscnt 0x1
	v_dual_mov_b32 v35, v24 :: v_dual_mov_b32 v24, v23
	v_mov_b32_e32 v34, v22
	s_delay_alu instid0(VALU_DEP_2) | instskip(SKIP_1) | instid1(VALU_DEP_2)
	v_pk_mul_f32 v[22:23], v[8:9], v[24:25]
	v_pk_mul_f32 v[24:25], v[6:7], v[24:25]
	v_pk_fma_f32 v[22:23], v[6:7], v[34:35], v[22:23] neg_lo:[0,0,1] neg_hi:[0,0,1]
	s_delay_alu instid0(VALU_DEP_2) | instskip(SKIP_3) | instid1(VALU_DEP_2)
	v_pk_fma_f32 v[24:25], v[8:9], v[34:35], v[24:25]
	s_wait_loadcnt 0x0
	v_dual_mov_b32 v34, v30 :: v_dual_mov_b32 v35, v32
	v_mov_b32_e32 v32, v31
	v_pk_add_f32 v[22:23], v[34:35], v[22:23]
	s_delay_alu instid0(VALU_DEP_2) | instskip(NEXT) | instid1(VALU_DEP_1)
	v_pk_add_f32 v[24:25], v[24:25], v[32:33]
	v_dual_mov_b32 v30, v22 :: v_dual_mov_b32 v31, v24
	s_delay_alu instid0(VALU_DEP_3)
	v_mov_b32_e32 v24, v23
	s_clause 0x3
	global_store_b64 v21, v[30:31], s[14:15] scale_offset
	global_store_b64 v36, v[24:25], s[14:15] scale_offset
	global_load_b64 v[22:23], v38, s[14:15] scale_offset
	global_load_b64 v[24:25], v37, s[14:15] scale_offset
	s_wait_dscnt 0x0
	v_dual_mov_b32 v31, v28 :: v_dual_add_nc_u32 v36, s27, v10
	v_dual_mov_b32 v28, v27 :: v_dual_mov_b32 v30, v26
	v_add_nc_u32_e32 v21, s29, v11
	s_delay_alu instid0(VALU_DEP_2) | instskip(SKIP_1) | instid1(VALU_DEP_2)
	v_pk_mul_f32 v[26:27], v[8:9], v[28:29]
	v_pk_mul_f32 v[28:29], v[6:7], v[28:29]
	v_pk_fma_f32 v[26:27], v[6:7], v[30:31], v[26:27] neg_lo:[0,0,1] neg_hi:[0,0,1]
	s_delay_alu instid0(VALU_DEP_2) | instskip(SKIP_3) | instid1(VALU_DEP_2)
	v_pk_fma_f32 v[28:29], v[8:9], v[30:31], v[28:29]
	s_wait_loadcnt 0x0
	v_dual_mov_b32 v30, v22 :: v_dual_mov_b32 v31, v24
	v_mov_b32_e32 v24, v23
	v_pk_add_f32 v[22:23], v[30:31], v[26:27]
	s_delay_alu instid0(VALU_DEP_1) | instskip(NEXT) | instid1(VALU_DEP_3)
	v_mov_b32_e32 v26, v22
	v_pk_add_f32 v[24:25], v[28:29], v[24:25]
	s_delay_alu instid0(VALU_DEP_1)
	v_dual_mov_b32 v27, v24 :: v_dual_mov_b32 v24, v23
	s_clause 0x3
	global_store_b64 v38, v[26:27], s[14:15] scale_offset
	global_store_b64 v37, v[24:25], s[14:15] scale_offset
	global_load_b64 v[30:31], v36, s[14:15] scale_offset
	global_load_b64 v[32:33], v21, s[14:15] scale_offset
	s_wait_xcnt 0x2
	ds_load_2addr_stride64_b64 v[22:25], v13 offset0:4 offset1:5
	ds_load_2addr_stride64_b64 v[26:29], v13 offset0:6 offset1:7
	v_dual_add_nc_u32 v37, s33, v11 :: v_dual_add_nc_u32 v38, s30, v10
	v_add_nc_u32_e32 v11, 0x200, v11
	s_wait_dscnt 0x1
	v_dual_mov_b32 v35, v24 :: v_dual_mov_b32 v24, v23
	v_mov_b32_e32 v34, v22
	s_delay_alu instid0(VALU_DEP_2) | instskip(SKIP_1) | instid1(VALU_DEP_2)
	v_pk_mul_f32 v[22:23], v[8:9], v[24:25]
	v_pk_mul_f32 v[24:25], v[6:7], v[24:25]
	v_pk_fma_f32 v[22:23], v[6:7], v[34:35], v[22:23] neg_lo:[0,0,1] neg_hi:[0,0,1]
	s_delay_alu instid0(VALU_DEP_2) | instskip(SKIP_3) | instid1(VALU_DEP_2)
	v_pk_fma_f32 v[24:25], v[8:9], v[34:35], v[24:25]
	s_wait_loadcnt 0x0
	v_dual_mov_b32 v34, v30 :: v_dual_mov_b32 v35, v32
	v_mov_b32_e32 v32, v31
	v_pk_add_f32 v[22:23], v[34:35], v[22:23]
	s_delay_alu instid0(VALU_DEP_2) | instskip(NEXT) | instid1(VALU_DEP_1)
	v_pk_add_f32 v[24:25], v[24:25], v[32:33]
	v_dual_mov_b32 v30, v22 :: v_dual_mov_b32 v31, v24
	s_delay_alu instid0(VALU_DEP_3)
	v_mov_b32_e32 v24, v23
	s_clause 0x3
	global_store_b64 v36, v[30:31], s[14:15] scale_offset
	global_store_b64 v21, v[24:25], s[14:15] scale_offset
	global_load_b64 v[22:23], v38, s[14:15] scale_offset
	global_load_b64 v[24:25], v37, s[14:15] scale_offset
	s_wait_dscnt 0x0
	v_dual_mov_b32 v31, v28 :: v_dual_mov_b32 v28, v27
	v_dual_mov_b32 v30, v26 :: v_dual_mov_b32 v21, s34
	s_delay_alu instid0(VALU_DEP_2) | instskip(SKIP_1) | instid1(VALU_DEP_2)
	v_pk_mul_f32 v[26:27], v[8:9], v[28:29]
	v_pk_mul_f32 v[28:29], v[6:7], v[28:29]
	v_pk_fma_f32 v[26:27], v[6:7], v[30:31], v[26:27] neg_lo:[0,0,1] neg_hi:[0,0,1]
	s_delay_alu instid0(VALU_DEP_2) | instskip(SKIP_3) | instid1(VALU_DEP_2)
	v_pk_fma_f32 v[28:29], v[8:9], v[30:31], v[28:29]
	s_wait_loadcnt 0x0
	v_dual_mov_b32 v30, v22 :: v_dual_mov_b32 v31, v24
	v_mov_b32_e32 v24, v23
	v_pk_add_f32 v[22:23], v[30:31], v[26:27]
	v_add_nc_u32_e32 v12, -4, v12
	s_delay_alu instid0(VALU_DEP_3) | instskip(SKIP_1) | instid1(VALU_DEP_4)
	v_pk_add_f32 v[24:25], v[28:29], v[24:25]
	v_add_nc_u32_e32 v10, 0x200, v10
	v_dual_mov_b32 v26, v22 :: v_dual_add_nc_u32 v13, 0x1000, v13
	s_delay_alu instid0(VALU_DEP_4) | instskip(NEXT) | instid1(VALU_DEP_4)
	v_cmp_eq_u32_e32 vcc_lo, 0, v12
	v_dual_mov_b32 v27, v24 :: v_dual_mov_b32 v24, v23
	s_clause 0x1
	global_store_b64 v38, v[26:27], s[14:15] scale_offset
	global_store_b64 v37, v[24:25], s[14:15] scale_offset
	s_or_b32 s31, vcc_lo, s31
	s_wait_xcnt 0x0
	s_and_not1_b32 exec_lo, exec_lo, s31
	s_cbranch_execnz .LBB0_26
; %bb.27:                               ;   in Loop: Header=BB0_6 Depth=1
	s_or_b32 exec_lo, exec_lo, s31
.LBB0_28:                               ;   in Loop: Header=BB0_6 Depth=1
	s_delay_alu instid0(SALU_CYCLE_1)
	s_or_b32 exec_lo, exec_lo, s25
	s_and_saveexec_b32 s25, s5
	s_cbranch_execz .LBB0_31
; %bb.29:                               ;   in Loop: Header=BB0_6 Depth=1
	v_lshl_or_b32 v12, v21, 9, v2
	v_mov_b32_e32 v13, v15
	s_mov_b32 s26, 0
.LBB0_30:                               ;   Parent Loop BB0_6 Depth=1
                                        ; =>  This Inner Loop Header: Depth=2
	v_dual_add_nc_u32 v21, s24, v10 :: v_dual_add_nc_u32 v32, s24, v11
	v_add_nc_u32_e32 v10, 0x80, v10
	s_clause 0x1
	global_load_b64 v[26:27], v21, s[14:15] scale_offset
	global_load_b64 v[28:29], v32, s[14:15] scale_offset
	ds_load_2addr_stride64_b64 v[22:25], v12 offset1:1
	s_wait_dscnt 0x0
	v_dual_mov_b32 v31, v24 :: v_dual_add_nc_u32 v12, 0x400, v12
	v_dual_mov_b32 v24, v23 :: v_dual_mov_b32 v30, v22
	s_delay_alu instid0(VALU_DEP_1) | instskip(SKIP_1) | instid1(VALU_DEP_2)
	v_pk_mul_f32 v[22:23], v[8:9], v[24:25]
	v_pk_mul_f32 v[24:25], v[6:7], v[24:25]
	v_pk_fma_f32 v[22:23], v[6:7], v[30:31], v[22:23] neg_lo:[0,0,1] neg_hi:[0,0,1]
	s_delay_alu instid0(VALU_DEP_2) | instskip(SKIP_3) | instid1(VALU_DEP_2)
	v_pk_fma_f32 v[24:25], v[8:9], v[30:31], v[24:25]
	s_wait_loadcnt 0x0
	v_dual_mov_b32 v30, v26 :: v_dual_mov_b32 v31, v28
	v_mov_b32_e32 v28, v27
	v_pk_add_f32 v[22:23], v[30:31], v[22:23]
	s_delay_alu instid0(VALU_DEP_2) | instskip(SKIP_1) | instid1(VALU_DEP_3)
	v_pk_add_f32 v[24:25], v[24:25], v[28:29]
	v_add_nc_u32_e32 v13, -1, v13
	v_dual_mov_b32 v26, v22 :: v_dual_add_nc_u32 v11, 0x80, v11
	s_delay_alu instid0(VALU_DEP_3) | instskip(NEXT) | instid1(VALU_DEP_3)
	v_mov_b32_e32 v27, v24
	v_cmp_eq_u32_e32 vcc_lo, 0, v13
	v_mov_b32_e32 v24, v23
	s_clause 0x1
	global_store_b64 v21, v[26:27], s[14:15] scale_offset
	global_store_b64 v32, v[24:25], s[14:15] scale_offset
	s_or_b32 s26, vcc_lo, s26
	s_wait_xcnt 0x0
	s_and_not1_b32 exec_lo, exec_lo, s26
	s_cbranch_execnz .LBB0_30
.LBB0_31:                               ;   in Loop: Header=BB0_6 Depth=1
	s_or_b32 exec_lo, exec_lo, s25
	s_mov_b32 s24, 0
	s_and_saveexec_b32 s25, s6
	s_delay_alu instid0(SALU_CYCLE_1)
	s_xor_b32 s25, exec_lo, s25
; %bb.32:                               ;   in Loop: Header=BB0_6 Depth=1
	s_mov_b32 s24, exec_lo
; %bb.33:                               ;   in Loop: Header=BB0_6 Depth=1
	s_or_b32 exec_lo, exec_lo, s25
	v_mov_b32_e32 v21, v20
	s_and_b32 s24, s24, exec_lo
	s_or_saveexec_b32 s23, s23
	v_mov_b32_e32 v10, v14
	s_xor_b32 exec_lo, exec_lo, s23
	s_cbranch_execz .LBB0_23
.LBB0_34:                               ;   in Loop: Header=BB0_6 Depth=1
	v_dual_mov_b32 v10, v0 :: v_dual_mov_b32 v21, v2
	s_or_b32 s24, s24, exec_lo
	s_or_b32 exec_lo, exec_lo, s23
	s_delay_alu instid0(SALU_CYCLE_1)
	s_and_b32 exec_lo, exec_lo, s24
	s_cbranch_execz .LBB0_5
.LBB0_35:                               ;   in Loop: Header=BB0_6 Depth=1
	v_dual_ashrrev_i32 v11, 31, v10 :: v_dual_mov_b32 v9, v8
	s_add_nc_u64 s[18:19], s[10:11], s[18:19]
	v_mov_b32_e32 v7, v6
	s_delay_alu instid0(VALU_DEP_2)
	v_lshl_add_u64 v[12:13], v[10:11], 3, s[18:19]
	s_mov_b32 s18, 0
.LBB0_36:                               ;   Parent Loop BB0_6 Depth=1
                                        ; =>  This Inner Loop Header: Depth=2
	global_load_b64 v[22:23], v[12:13], off
	ds_load_b64 v[24:25], v21
	v_add_nc_u32_e32 v21, 0x200, v21
	v_add_nc_u32_e32 v10, 64, v10
	s_delay_alu instid0(VALU_DEP_1) | instskip(SKIP_3) | instid1(VALU_DEP_1)
	v_cmp_le_i32_e32 vcc_lo, s12, v10
	s_or_b32 s18, vcc_lo, s18
	s_wait_dscnt 0x0
	v_pk_mul_f32 v[26:27], v[8:9], v[24:25] op_sel:[0,1] op_sel_hi:[1,0]
	v_pk_fma_f32 v[28:29], v[6:7], v[24:25], v[26:27]
	v_pk_fma_f32 v[24:25], v[6:7], v[24:25], v[26:27] neg_lo:[0,0,1] neg_hi:[0,0,1]
	s_delay_alu instid0(VALU_DEP_2) | instskip(SKIP_1) | instid1(VALU_DEP_1)
	v_mov_b32_e32 v25, v29
	s_wait_loadcnt 0x0
	v_pk_add_f32 v[22:23], v[22:23], v[24:25]
	global_store_b64 v[12:13], v[22:23], off
	s_wait_xcnt 0x0
	v_add_nc_u64_e32 v[12:13], 0x200, v[12:13]
	s_and_not1_b32 exec_lo, exec_lo, s18
	s_cbranch_execnz .LBB0_36
	s_branch .LBB0_5
.LBB0_37:
	s_endpgm
	.section	.rodata,"a",@progbits
	.p2align	6, 0x0
	.amdhsa_kernel _ZN9rocsolver6v33100L22larf_left_kernel_smallILi64E19rocblas_complex_numIfEiPS3_EEvT1_S5_T2_lS5_lPKT0_lS6_lS5_l
		.amdhsa_group_segment_fixed_size 16896
		.amdhsa_private_segment_fixed_size 0
		.amdhsa_kernarg_size 88
		.amdhsa_user_sgpr_count 2
		.amdhsa_user_sgpr_dispatch_ptr 0
		.amdhsa_user_sgpr_queue_ptr 0
		.amdhsa_user_sgpr_kernarg_segment_ptr 1
		.amdhsa_user_sgpr_dispatch_id 0
		.amdhsa_user_sgpr_kernarg_preload_length 0
		.amdhsa_user_sgpr_kernarg_preload_offset 0
		.amdhsa_user_sgpr_private_segment_size 0
		.amdhsa_wavefront_size32 1
		.amdhsa_uses_dynamic_stack 0
		.amdhsa_enable_private_segment 0
		.amdhsa_system_sgpr_workgroup_id_x 1
		.amdhsa_system_sgpr_workgroup_id_y 1
		.amdhsa_system_sgpr_workgroup_id_z 0
		.amdhsa_system_sgpr_workgroup_info 0
		.amdhsa_system_vgpr_workitem_id 0
		.amdhsa_next_free_vgpr 113
		.amdhsa_next_free_sgpr 35
		.amdhsa_named_barrier_count 0
		.amdhsa_reserve_vcc 1
		.amdhsa_float_round_mode_32 0
		.amdhsa_float_round_mode_16_64 0
		.amdhsa_float_denorm_mode_32 3
		.amdhsa_float_denorm_mode_16_64 3
		.amdhsa_fp16_overflow 0
		.amdhsa_memory_ordered 1
		.amdhsa_forward_progress 1
		.amdhsa_inst_pref_size 22
		.amdhsa_round_robin_scheduling 0
		.amdhsa_exception_fp_ieee_invalid_op 0
		.amdhsa_exception_fp_denorm_src 0
		.amdhsa_exception_fp_ieee_div_zero 0
		.amdhsa_exception_fp_ieee_overflow 0
		.amdhsa_exception_fp_ieee_underflow 0
		.amdhsa_exception_fp_ieee_inexact 0
		.amdhsa_exception_int_div_zero 0
	.end_amdhsa_kernel
	.section	.text._ZN9rocsolver6v33100L22larf_left_kernel_smallILi64E19rocblas_complex_numIfEiPS3_EEvT1_S5_T2_lS5_lPKT0_lS6_lS5_l,"axG",@progbits,_ZN9rocsolver6v33100L22larf_left_kernel_smallILi64E19rocblas_complex_numIfEiPS3_EEvT1_S5_T2_lS5_lPKT0_lS6_lS5_l,comdat
.Lfunc_end0:
	.size	_ZN9rocsolver6v33100L22larf_left_kernel_smallILi64E19rocblas_complex_numIfEiPS3_EEvT1_S5_T2_lS5_lPKT0_lS6_lS5_l, .Lfunc_end0-_ZN9rocsolver6v33100L22larf_left_kernel_smallILi64E19rocblas_complex_numIfEiPS3_EEvT1_S5_T2_lS5_lPKT0_lS6_lS5_l
                                        ; -- End function
	.set _ZN9rocsolver6v33100L22larf_left_kernel_smallILi64E19rocblas_complex_numIfEiPS3_EEvT1_S5_T2_lS5_lPKT0_lS6_lS5_l.num_vgpr, 39
	.set _ZN9rocsolver6v33100L22larf_left_kernel_smallILi64E19rocblas_complex_numIfEiPS3_EEvT1_S5_T2_lS5_lPKT0_lS6_lS5_l.num_agpr, 0
	.set _ZN9rocsolver6v33100L22larf_left_kernel_smallILi64E19rocblas_complex_numIfEiPS3_EEvT1_S5_T2_lS5_lPKT0_lS6_lS5_l.numbered_sgpr, 35
	.set _ZN9rocsolver6v33100L22larf_left_kernel_smallILi64E19rocblas_complex_numIfEiPS3_EEvT1_S5_T2_lS5_lPKT0_lS6_lS5_l.num_named_barrier, 0
	.set _ZN9rocsolver6v33100L22larf_left_kernel_smallILi64E19rocblas_complex_numIfEiPS3_EEvT1_S5_T2_lS5_lPKT0_lS6_lS5_l.private_seg_size, 0
	.set _ZN9rocsolver6v33100L22larf_left_kernel_smallILi64E19rocblas_complex_numIfEiPS3_EEvT1_S5_T2_lS5_lPKT0_lS6_lS5_l.uses_vcc, 1
	.set _ZN9rocsolver6v33100L22larf_left_kernel_smallILi64E19rocblas_complex_numIfEiPS3_EEvT1_S5_T2_lS5_lPKT0_lS6_lS5_l.uses_flat_scratch, 0
	.set _ZN9rocsolver6v33100L22larf_left_kernel_smallILi64E19rocblas_complex_numIfEiPS3_EEvT1_S5_T2_lS5_lPKT0_lS6_lS5_l.has_dyn_sized_stack, 0
	.set _ZN9rocsolver6v33100L22larf_left_kernel_smallILi64E19rocblas_complex_numIfEiPS3_EEvT1_S5_T2_lS5_lPKT0_lS6_lS5_l.has_recursion, 0
	.set _ZN9rocsolver6v33100L22larf_left_kernel_smallILi64E19rocblas_complex_numIfEiPS3_EEvT1_S5_T2_lS5_lPKT0_lS6_lS5_l.has_indirect_call, 0
	.section	.AMDGPU.csdata,"",@progbits
; Kernel info:
; codeLenInByte = 2712
; TotalNumSgprs: 37
; NumVgprs: 39
; ScratchSize: 0
; MemoryBound: 0
; FloatMode: 240
; IeeeMode: 1
; LDSByteSize: 16896 bytes/workgroup (compile time only)
; SGPRBlocks: 0
; VGPRBlocks: 7
; NumSGPRsForWavesPerEU: 37
; NumVGPRsForWavesPerEU: 113
; NamedBarCnt: 0
; Occupancy: 8
; WaveLimiterHint : 0
; COMPUTE_PGM_RSRC2:SCRATCH_EN: 0
; COMPUTE_PGM_RSRC2:USER_SGPR: 2
; COMPUTE_PGM_RSRC2:TRAP_HANDLER: 0
; COMPUTE_PGM_RSRC2:TGID_X_EN: 1
; COMPUTE_PGM_RSRC2:TGID_Y_EN: 1
; COMPUTE_PGM_RSRC2:TGID_Z_EN: 0
; COMPUTE_PGM_RSRC2:TIDIG_COMP_CNT: 0
	.section	.text._ZN9rocsolver6v33100L22larf_left_kernel_smallILi128E19rocblas_complex_numIfEiPS3_EEvT1_S5_T2_lS5_lPKT0_lS6_lS5_l,"axG",@progbits,_ZN9rocsolver6v33100L22larf_left_kernel_smallILi128E19rocblas_complex_numIfEiPS3_EEvT1_S5_T2_lS5_lPKT0_lS6_lS5_l,comdat
	.globl	_ZN9rocsolver6v33100L22larf_left_kernel_smallILi128E19rocblas_complex_numIfEiPS3_EEvT1_S5_T2_lS5_lPKT0_lS6_lS5_l ; -- Begin function _ZN9rocsolver6v33100L22larf_left_kernel_smallILi128E19rocblas_complex_numIfEiPS3_EEvT1_S5_T2_lS5_lPKT0_lS6_lS5_l
	.p2align	8
	.type	_ZN9rocsolver6v33100L22larf_left_kernel_smallILi128E19rocblas_complex_numIfEiPS3_EEvT1_S5_T2_lS5_lPKT0_lS6_lS5_l,@function
_ZN9rocsolver6v33100L22larf_left_kernel_smallILi128E19rocblas_complex_numIfEiPS3_EEvT1_S5_T2_lS5_lPKT0_lS6_lS5_l: ; @_ZN9rocsolver6v33100L22larf_left_kernel_smallILi128E19rocblas_complex_numIfEiPS3_EEvT1_S5_T2_lS5_lPKT0_lS6_lS5_l
; %bb.0:
	s_clause 0x2
	s_load_b64 s[12:13], s[0:1], 0x0
	s_load_b256 s[4:11], s[0:1], 0x20
	s_load_b64 s[16:17], s[0:1], 0x40
	s_bfe_u32 s2, ttmp6, 0x4000c
	s_and_b32 s14, ttmp6, 15
	s_add_co_i32 s2, s2, 1
	s_getreg_b32 s3, hwreg(HW_REG_IB_STS2, 6, 4)
	s_mul_i32 s2, ttmp9, s2
	v_lshlrev_b32_e32 v2, 3, v0
	s_add_co_i32 s14, s14, s2
	s_cmp_eq_u32 s3, 0
	s_mov_b32 s18, 0
	s_cselect_b32 s14, ttmp9, s14
	s_delay_alu instid0(SALU_CYCLE_1)
	s_ashr_i32 s15, s14, 31
	s_wait_kmcnt 0x0
	v_cmp_gt_i32_e64 s2, s12, v0
	s_and_saveexec_b32 s19, s2
	s_cbranch_execz .LBB1_3
; %bb.1:
	s_clause 0x1
	s_load_b128 s[20:23], s[0:1], 0x8
	s_load_b32 s24, s[0:1], 0x18
	s_mul_u64 s[4:5], s[4:5], s[14:15]
	s_sub_co_i32 s25, 1, s12
	s_lshl_b64 s[4:5], s[4:5], 3
	v_dual_mov_b32 v4, v0 :: v_dual_lshlrev_b32 v3, 3, v0
	s_wait_kmcnt 0x0
	s_lshl_b64 s[22:23], s[22:23], 3
	s_mul_i32 s25, s24, s25
	s_cmp_lt_i32 s24, 1
	s_add_nc_u64 s[4:5], s[20:21], s[4:5]
	s_cselect_b32 s25, s25, 0
	s_add_nc_u64 s[4:5], s[4:5], s[22:23]
	v_mad_u32 v1, v0, s24, s25
	s_lshl_b32 s20, s24, 7
.LBB1_2:                                ; =>This Inner Loop Header: Depth=1
	global_load_b64 v[6:7], v1, s[4:5] scale_offset
	v_add_nc_u32_e32 v4, 0x80, v4
	s_wait_xcnt 0x0
	v_add_nc_u32_e32 v1, s20, v1
	s_delay_alu instid0(VALU_DEP_2)
	v_cmp_le_i32_e32 vcc_lo, s12, v4
	s_or_b32 s18, vcc_lo, s18
	s_wait_loadcnt 0x0
	ds_store_b64 v3, v[6:7]
	v_add_nc_u32_e32 v3, 0x400, v3
	s_and_not1_b32 exec_lo, exec_lo, s18
	s_cbranch_execnz .LBB1_2
.LBB1_3:
	s_or_b32 exec_lo, exec_lo, s19
	s_bfe_u32 s4, ttmp6, 0x40010
	s_bfe_u32 s5, ttmp6, 0x40004
	s_add_co_i32 s4, s4, 1
	s_wait_dscnt 0x0
	s_mul_i32 s4, ttmp7, s4
	s_barrier_signal -1
	s_add_co_i32 s5, s5, s4
	s_cmp_eq_u32 s3, 0
	s_barrier_wait -1
	s_cselect_b32 s20, ttmp7, s5
	s_delay_alu instid0(SALU_CYCLE_1)
	s_cmp_ge_i32 s20, s13
	s_cbranch_scc1 .LBB1_37
; %bb.4:
	s_clause 0x1
	s_load_b64 s[4:5], s[0:1], 0x50
	s_load_b32 s21, s[0:1], 0x48
	v_xad_u32 v4, v0, -1, s12
	s_mul_u64 s[8:9], s[8:9], s[14:15]
	v_dual_lshrrev_b32 v6, 2, v0 :: v_dual_bitop2_b32 v5, 31, v0 bitop3:0x40
	s_delay_alu instid0(VALU_DEP_2)
	v_dual_mov_b32 v3, 0 :: v_dual_lshrrev_b32 v7, 7, v4
	s_lshl_b64 s[8:9], s[8:9], 3
	s_lshl_b64 s[16:17], s[16:17], 3
	s_add_nc_u64 s[8:9], s[6:7], s[8:9]
	s_wait_xcnt 0x0
	v_cmp_eq_u32_e64 s1, 0, v5
	v_dual_add_nc_u32 v8, -1, v7 :: v_dual_add_nc_u32 v7, 1, v7
	v_cmp_lt_u32_e64 s3, 0x7f, v4
	v_mbcnt_lo_u32_b32 v14, -1, 0
	v_cmp_eq_u32_e64 s0, 0, v0
	s_delay_alu instid0(VALU_DEP_4)
	v_lshrrev_b32_e32 v4, 1, v8
	v_and_b32_e32 v5, 0x3fffffe, v7
	v_or_b32_e32 v1, 0x80, v0
	s_wait_kmcnt 0x0
	s_mul_u64 s[6:7], s[4:5], s[14:15]
	v_cmp_lt_u32_e64 s4, 5, v8
	s_lshl_b64 s[6:7], s[6:7], 3
	v_lshl_or_b32 v15, v5, 7, v0
	s_add_nc_u64 s[14:15], s[6:7], s[16:17]
	v_add_nc_u32_e32 v8, 1, v4
	s_add_nc_u64 s[14:15], s[10:11], s[14:15]
	v_cmp_ne_u32_e64 s5, v7, v5
	v_add_nc_u64_e32 v[4:5], s[14:15], v[2:3]
	s_delay_alu instid0(VALU_DEP_3) | instskip(SKIP_4) | instid1(VALU_DEP_4)
	v_dual_lshlrev_b32 v21, 3, v15 :: v_dual_bitop2_b32 v16, 3, v8 bitop3:0x40
	s_add_nc_u64 s[6:7], s[10:11], s[6:7]
	v_and_b32_e32 v17, -4, v8
	s_add_nc_u64 s[10:11], s[6:7], s[16:17]
	v_lshl_or_b32 v18, v14, 2, 64
	v_add_nc_u64_e32 v[4:5], 4, v[4:5]
	v_cmp_ne_u32_e64 s6, 0, v16
	v_or_b32_e32 v19, 0x4000, v6
	v_mov_b32_e32 v20, 0x4008
	s_cmp_gt_i32 s12, 1
	s_mul_i32 s16, s20, s21
	s_cselect_b32 s7, -1, 0
	s_lshl_b32 s22, s21, 6
	s_branch .LBB1_6
.LBB1_5:                                ;   in Loop: Header=BB1_6 Depth=1
	s_or_b32 exec_lo, exec_lo, s17
	s_add_co_i32 s20, s20, 64
	s_add_co_i32 s16, s16, s22
	s_cmp_ge_i32 s20, s13
	s_cbranch_scc1 .LBB1_37
.LBB1_6:                                ; =>This Loop Header: Depth=1
                                        ;     Child Loop BB1_8 Depth 2
                                        ;     Child Loop BB1_26 Depth 2
                                        ;     Child Loop BB1_30 Depth 2
                                        ;     Child Loop BB1_36 Depth 2
	v_mov_b64_e32 v[6:7], 0
	s_ashr_i32 s17, s16, 31
	s_delay_alu instid0(SALU_CYCLE_1)
	s_lshl_b64 s[18:19], s[16:17], 3
	s_and_saveexec_b32 s17, s2
	s_cbranch_execz .LBB1_10
; %bb.7:                                ;   in Loop: Header=BB1_6 Depth=1
	v_dual_mov_b32 v7, 0 :: v_dual_mov_b32 v10, v2
	v_add_nc_u64_e32 v[8:9], s[18:19], v[4:5]
	v_mov_b32_e32 v11, v0
	s_mov_b32 s23, 0
	s_delay_alu instid0(VALU_DEP_3)
	v_mov_b32_e32 v6, v7
.LBB1_8:                                ;   Parent Loop BB1_6 Depth=1
                                        ; =>  This Inner Loop Header: Depth=2
	global_load_b64 v[12:13], v[8:9], off offset:-4
	ds_load_b64 v[22:23], v10
	s_wait_xcnt 0x0
	v_add_nc_u64_e32 v[8:9], 0x400, v[8:9]
	v_add_nc_u32_e32 v10, 0x400, v10
	s_wait_loadcnt_dscnt 0x0
	v_dual_mul_f32 v24, v13, v23 :: v_dual_mul_f32 v13, v13, v22
	s_delay_alu instid0(VALU_DEP_1) | instskip(NEXT) | instid1(VALU_DEP_2)
	v_dual_fmac_f32 v24, v12, v22 :: v_dual_add_nc_u32 v11, 0x80, v11
	v_fma_f32 v25, v12, v23, -v13
	s_delay_alu instid0(VALU_DEP_2) | instskip(NEXT) | instid1(VALU_DEP_2)
	v_cmp_le_i32_e32 vcc_lo, s12, v11
	v_pk_add_f32 v[6:7], v[6:7], v[24:25]
	s_or_b32 s23, vcc_lo, s23
	s_delay_alu instid0(SALU_CYCLE_1)
	s_and_not1_b32 exec_lo, exec_lo, s23
	s_cbranch_execnz .LBB1_8
; %bb.9:                                ;   in Loop: Header=BB1_6 Depth=1
	s_or_b32 exec_lo, exec_lo, s23
.LBB1_10:                               ;   in Loop: Header=BB1_6 Depth=1
	s_delay_alu instid0(SALU_CYCLE_1) | instskip(NEXT) | instid1(SALU_CYCLE_1)
	s_or_b32 exec_lo, exec_lo, s17
	s_and_b32 vcc_lo, exec_lo, s7
	s_cbranch_vccz .LBB1_17
; %bb.11:                               ;   in Loop: Header=BB1_6 Depth=1
	v_cmp_ne_u32_e32 vcc_lo, 31, v14
	v_add_co_ci_u32_e64 v8, null, 0, v14, vcc_lo
	v_cmp_gt_u32_e32 vcc_lo, 30, v14
	s_delay_alu instid0(VALU_DEP_2)
	v_lshlrev_b32_e32 v9, 2, v8
	v_cndmask_b32_e64 v10, 0, 2, vcc_lo
	v_cmp_gt_u32_e32 vcc_lo, 28, v14
	ds_bpermute_b32 v8, v9, v6
	ds_bpermute_b32 v9, v9, v7
	v_add_lshl_u32 v11, v10, v14, 2
	v_cndmask_b32_e64 v12, 0, 4, vcc_lo
	v_cmp_gt_u32_e32 vcc_lo, 24, v14
	s_delay_alu instid0(VALU_DEP_2)
	v_add_lshl_u32 v12, v12, v14, 2
	s_wait_dscnt 0x0
	v_pk_add_f32 v[8:9], v[6:7], v[8:9]
	ds_bpermute_b32 v10, v11, v8
	ds_bpermute_b32 v11, v11, v9
	s_wait_dscnt 0x0
	v_pk_add_f32 v[8:9], v[8:9], v[10:11]
	ds_bpermute_b32 v10, v12, v8
	ds_bpermute_b32 v11, v12, v9
	v_cndmask_b32_e64 v12, 0, 8, vcc_lo
	s_delay_alu instid0(VALU_DEP_1)
	v_add_lshl_u32 v12, v12, v14, 2
	s_wait_dscnt 0x0
	v_pk_add_f32 v[8:9], v[8:9], v[10:11]
	ds_bpermute_b32 v10, v12, v8
	ds_bpermute_b32 v11, v12, v9
	s_wait_dscnt 0x0
	v_pk_add_f32 v[8:9], v[8:9], v[10:11]
	ds_bpermute_b32 v10, v18, v8
	ds_bpermute_b32 v11, v18, v9
	s_wait_dscnt 0x0
	v_pk_add_f32 v[8:9], v[8:9], v[10:11]
	s_and_saveexec_b32 s17, s1
; %bb.12:                               ;   in Loop: Header=BB1_6 Depth=1
	ds_store_2addr_b32 v19, v8, v9 offset1:1
; %bb.13:                               ;   in Loop: Header=BB1_6 Depth=1
	s_or_b32 exec_lo, exec_lo, s17
	s_mov_b32 s23, 0
	s_mov_b32 s17, 0
	s_wait_dscnt 0x0
	s_barrier_signal -1
	s_barrier_wait -1
                                        ; implicit-def: $vgpr10_vgpr11
	s_and_saveexec_b32 s24, s0
	s_delay_alu instid0(SALU_CYCLE_1)
	s_xor_b32 s24, exec_lo, s24
	s_cbranch_execz .LBB1_15
; %bb.14:                               ;   in Loop: Header=BB1_6 Depth=1
	ds_load_2addr_b64 v[10:13], v20 offset1:1
	ds_load_b64 v[22:23], v3 offset:16408
	s_mov_b32 s17, exec_lo
	s_wait_dscnt 0x1
	v_pk_add_f32 v[8:9], v[8:9], v[10:11]
	s_delay_alu instid0(VALU_DEP_1) | instskip(SKIP_1) | instid1(VALU_DEP_1)
	v_pk_add_f32 v[8:9], v[8:9], v[12:13]
	s_wait_dscnt 0x0
	v_pk_add_f32 v[10:11], v[8:9], v[22:23]
.LBB1_15:                               ;   in Loop: Header=BB1_6 Depth=1
	s_or_b32 exec_lo, exec_lo, s24
	s_delay_alu instid0(SALU_CYCLE_1)
	s_and_b32 vcc_lo, exec_lo, s23
	s_cbranch_vccnz .LBB1_18
.LBB1_16:                               ;   in Loop: Header=BB1_6 Depth=1
	s_delay_alu instid0(VALU_DEP_1)
	v_mov_b64_e32 v[6:7], v[10:11]
	s_and_saveexec_b32 s23, s17
	s_cbranch_execnz .LBB1_19
	s_branch .LBB1_20
.LBB1_17:                               ;   in Loop: Header=BB1_6 Depth=1
	s_mov_b32 s17, 0
                                        ; implicit-def: $vgpr10_vgpr11
	s_cbranch_execz .LBB1_16
.LBB1_18:                               ;   in Loop: Header=BB1_6 Depth=1
	s_and_not1_b32 s17, s17, exec_lo
	s_and_b32 s23, s0, exec_lo
	s_delay_alu instid0(SALU_CYCLE_1) | instskip(NEXT) | instid1(SALU_CYCLE_1)
	s_or_b32 s17, s17, s23
	s_and_saveexec_b32 s23, s17
.LBB1_19:                               ;   in Loop: Header=BB1_6 Depth=1
	ds_store_b64 v3, v[6:7] offset:16384
.LBB1_20:                               ;   in Loop: Header=BB1_6 Depth=1
	s_or_b32 exec_lo, exec_lo, s23
	s_wait_dscnt 0x0
	s_barrier_signal -1
	s_barrier_wait -1
	s_and_saveexec_b32 s17, s2
	s_cbranch_execz .LBB1_5
; %bb.21:                               ;   in Loop: Header=BB1_6 Depth=1
	global_load_b64 v[10:11], v3, s[8:9]
	ds_load_b64 v[12:13], v3 offset:16384
	s_mov_b32 s24, 0
                                        ; implicit-def: $vgpr22
	s_wait_loadcnt_dscnt 0x0
	v_dual_mul_f32 v6, v11, v13 :: v_dual_mul_f32 v7, v11, v12
	v_xor_b32_e32 v9, 0x80000000, v10
	s_delay_alu instid0(VALU_DEP_2) | instskip(NEXT) | instid1(VALU_DEP_3)
	v_xor_b32_e32 v6, 0x80000000, v6
	v_xor_b32_e32 v8, 0x80000000, v7
	s_delay_alu instid0(VALU_DEP_2) | instskip(NEXT) | instid1(VALU_DEP_2)
	v_fmac_f32_e32 v6, v12, v9
	v_fmac_f32_e32 v8, v10, v13
	s_wait_xcnt 0x0
	s_and_saveexec_b32 s23, s3
	s_delay_alu instid0(SALU_CYCLE_1)
	s_xor_b32 s23, exec_lo, s23
	s_cbranch_execnz .LBB1_24
; %bb.22:                               ;   in Loop: Header=BB1_6 Depth=1
	s_or_saveexec_b32 s23, s23
	v_mov_b32_e32 v10, v15
	s_xor_b32 exec_lo, exec_lo, s23
	s_cbranch_execnz .LBB1_34
.LBB1_23:                               ;   in Loop: Header=BB1_6 Depth=1
	s_or_b32 exec_lo, exec_lo, s23
	s_delay_alu instid0(SALU_CYCLE_1)
	s_and_b32 exec_lo, exec_lo, s24
	s_cbranch_execz .LBB1_5
	s_branch .LBB1_35
.LBB1_24:                               ;   in Loop: Header=BB1_6 Depth=1
	v_mov_b64_e32 v[10:11], v[0:1]
	v_dual_mov_b32 v7, v6 :: v_dual_mov_b32 v9, v8
	v_mov_b32_e32 v22, 0
	s_mul_i32 s24, s20, s21
	s_and_saveexec_b32 s25, s4
	s_cbranch_execz .LBB1_28
; %bb.25:                               ;   in Loop: Header=BB1_6 Depth=1
	v_mov_b64_e32 v[10:11], v[0:1]
	v_dual_mov_b32 v12, v17 :: v_dual_mov_b32 v13, v2
	s_add_co_i32 s26, s24, 0x100
	s_add_co_i32 s27, s24, 0x200
	;; [unrolled: 1-line block ×3, first 2 shown]
	s_mov_b32 s28, s26
	s_mov_b32 s29, s27
	;; [unrolled: 1-line block ×5, first 2 shown]
.LBB1_26:                               ;   Parent Loop BB1_6 Depth=1
                                        ; =>  This Inner Loop Header: Depth=2
	v_dual_add_nc_u32 v32, s24, v10 :: v_dual_add_nc_u32 v33, s24, v11
	v_dual_add_nc_u32 v34, s28, v11 :: v_dual_add_nc_u32 v35, s26, v10
	s_add_co_i32 s34, s34, 8
	s_clause 0x1
	global_load_b64 v[26:27], v32, s[10:11] scale_offset
	global_load_b64 v[28:29], v33, s[10:11] scale_offset
	ds_load_2addr_stride64_b64 v[22:25], v13 offset1:2
	s_wait_dscnt 0x0
	v_dual_mov_b32 v31, v24 :: v_dual_mov_b32 v24, v23
	v_mov_b32_e32 v30, v22
	s_delay_alu instid0(VALU_DEP_2) | instskip(SKIP_1) | instid1(VALU_DEP_2)
	v_pk_mul_f32 v[22:23], v[8:9], v[24:25]
	v_pk_mul_f32 v[24:25], v[6:7], v[24:25]
	v_pk_fma_f32 v[22:23], v[6:7], v[30:31], v[22:23] neg_lo:[0,0,1] neg_hi:[0,0,1]
	s_delay_alu instid0(VALU_DEP_2) | instskip(SKIP_3) | instid1(VALU_DEP_2)
	v_pk_fma_f32 v[24:25], v[8:9], v[30:31], v[24:25]
	s_wait_loadcnt 0x0
	v_dual_mov_b32 v30, v26 :: v_dual_mov_b32 v31, v28
	v_mov_b32_e32 v28, v27
	v_pk_add_f32 v[22:23], v[30:31], v[22:23]
	s_delay_alu instid0(VALU_DEP_2) | instskip(NEXT) | instid1(VALU_DEP_1)
	v_pk_add_f32 v[24:25], v[24:25], v[28:29]
	v_dual_mov_b32 v26, v22 :: v_dual_mov_b32 v27, v24
	s_delay_alu instid0(VALU_DEP_3)
	v_mov_b32_e32 v24, v23
	s_clause 0x3
	global_store_b64 v32, v[26:27], s[10:11] scale_offset
	global_store_b64 v33, v[24:25], s[10:11] scale_offset
	global_load_b64 v[26:27], v35, s[10:11] scale_offset
	global_load_b64 v[28:29], v34, s[10:11] scale_offset
	s_wait_xcnt 0x2
	ds_load_2addr_stride64_b64 v[22:25], v13 offset0:4 offset1:6
	v_dual_add_nc_u32 v33, s27, v10 :: v_dual_add_nc_u32 v32, s29, v11
	s_wait_dscnt 0x0
	v_dual_mov_b32 v31, v24 :: v_dual_mov_b32 v24, v23
	v_mov_b32_e32 v30, v22
	s_delay_alu instid0(VALU_DEP_2) | instskip(SKIP_1) | instid1(VALU_DEP_2)
	v_pk_mul_f32 v[22:23], v[8:9], v[24:25]
	v_pk_mul_f32 v[24:25], v[6:7], v[24:25]
	v_pk_fma_f32 v[22:23], v[6:7], v[30:31], v[22:23] neg_lo:[0,0,1] neg_hi:[0,0,1]
	s_delay_alu instid0(VALU_DEP_2) | instskip(SKIP_2) | instid1(VALU_DEP_1)
	v_pk_fma_f32 v[24:25], v[8:9], v[30:31], v[24:25]
	s_wait_loadcnt 0x0
	v_dual_mov_b32 v30, v26 :: v_dual_mov_b32 v31, v28
	v_pk_add_f32 v[22:23], v[30:31], v[22:23]
	s_delay_alu instid0(VALU_DEP_1) | instskip(NEXT) | instid1(VALU_DEP_1)
	v_dual_mov_b32 v28, v27 :: v_dual_mov_b32 v26, v22
	v_pk_add_f32 v[24:25], v[24:25], v[28:29]
	s_delay_alu instid0(VALU_DEP_1)
	v_dual_mov_b32 v27, v24 :: v_dual_mov_b32 v24, v23
	s_clause 0x3
	global_store_b64 v35, v[26:27], s[10:11] scale_offset
	global_store_b64 v34, v[24:25], s[10:11] scale_offset
	global_load_b64 v[26:27], v33, s[10:11] scale_offset
	global_load_b64 v[28:29], v32, s[10:11] scale_offset
	s_wait_xcnt 0x2
	ds_load_2addr_stride64_b64 v[22:25], v13 offset0:8 offset1:10
	v_dual_add_nc_u32 v34, s33, v11 :: v_dual_add_nc_u32 v35, s30, v10
	v_add_nc_u32_e32 v11, 0x400, v11
	s_wait_dscnt 0x0
	v_dual_mov_b32 v31, v24 :: v_dual_mov_b32 v24, v23
	v_mov_b32_e32 v30, v22
	s_delay_alu instid0(VALU_DEP_2) | instskip(SKIP_1) | instid1(VALU_DEP_2)
	v_pk_mul_f32 v[22:23], v[8:9], v[24:25]
	v_pk_mul_f32 v[24:25], v[6:7], v[24:25]
	v_pk_fma_f32 v[22:23], v[6:7], v[30:31], v[22:23] neg_lo:[0,0,1] neg_hi:[0,0,1]
	s_delay_alu instid0(VALU_DEP_2) | instskip(SKIP_3) | instid1(VALU_DEP_2)
	v_pk_fma_f32 v[24:25], v[8:9], v[30:31], v[24:25]
	s_wait_loadcnt 0x0
	v_dual_mov_b32 v30, v26 :: v_dual_mov_b32 v31, v28
	v_mov_b32_e32 v28, v27
	v_pk_add_f32 v[22:23], v[30:31], v[22:23]
	s_delay_alu instid0(VALU_DEP_2) | instskip(NEXT) | instid1(VALU_DEP_1)
	v_pk_add_f32 v[24:25], v[24:25], v[28:29]
	v_dual_mov_b32 v26, v22 :: v_dual_mov_b32 v27, v24
	s_delay_alu instid0(VALU_DEP_3)
	v_mov_b32_e32 v24, v23
	s_clause 0x3
	global_store_b64 v33, v[26:27], s[10:11] scale_offset
	global_store_b64 v32, v[24:25], s[10:11] scale_offset
	global_load_b64 v[26:27], v35, s[10:11] scale_offset
	global_load_b64 v[28:29], v34, s[10:11] scale_offset
	s_wait_xcnt 0x2
	ds_load_2addr_stride64_b64 v[22:25], v13 offset0:12 offset1:14
	s_wait_dscnt 0x0
	v_dual_mov_b32 v31, v24 :: v_dual_mov_b32 v24, v23
	v_mov_b32_e32 v30, v22
	s_delay_alu instid0(VALU_DEP_2) | instskip(SKIP_1) | instid1(VALU_DEP_2)
	v_pk_mul_f32 v[22:23], v[8:9], v[24:25]
	v_pk_mul_f32 v[24:25], v[6:7], v[24:25]
	v_pk_fma_f32 v[22:23], v[6:7], v[30:31], v[22:23] neg_lo:[0,0,1] neg_hi:[0,0,1]
	s_delay_alu instid0(VALU_DEP_2) | instskip(SKIP_3) | instid1(VALU_DEP_2)
	v_pk_fma_f32 v[24:25], v[8:9], v[30:31], v[24:25]
	s_wait_loadcnt 0x0
	v_dual_mov_b32 v30, v26 :: v_dual_mov_b32 v31, v28
	v_mov_b32_e32 v28, v27
	v_pk_add_f32 v[22:23], v[30:31], v[22:23]
	v_add_nc_u32_e32 v12, -4, v12
	s_delay_alu instid0(VALU_DEP_3) | instskip(SKIP_1) | instid1(VALU_DEP_4)
	v_pk_add_f32 v[24:25], v[24:25], v[28:29]
	v_add_nc_u32_e32 v10, 0x400, v10
	v_dual_mov_b32 v26, v22 :: v_dual_add_nc_u32 v13, 0x2000, v13
	s_delay_alu instid0(VALU_DEP_4) | instskip(NEXT) | instid1(VALU_DEP_4)
	v_cmp_eq_u32_e32 vcc_lo, 0, v12
	v_dual_mov_b32 v27, v24 :: v_dual_mov_b32 v22, s34
	v_mov_b32_e32 v24, v23
	s_clause 0x1
	global_store_b64 v35, v[26:27], s[10:11] scale_offset
	global_store_b64 v34, v[24:25], s[10:11] scale_offset
	s_or_b32 s31, vcc_lo, s31
	s_wait_xcnt 0x0
	s_and_not1_b32 exec_lo, exec_lo, s31
	s_cbranch_execnz .LBB1_26
; %bb.27:                               ;   in Loop: Header=BB1_6 Depth=1
	s_or_b32 exec_lo, exec_lo, s31
.LBB1_28:                               ;   in Loop: Header=BB1_6 Depth=1
	s_delay_alu instid0(SALU_CYCLE_1)
	s_or_b32 exec_lo, exec_lo, s25
	s_and_saveexec_b32 s25, s6
	s_cbranch_execz .LBB1_31
; %bb.29:                               ;   in Loop: Header=BB1_6 Depth=1
	v_lshl_or_b32 v12, v22, 10, v2
	v_mov_b32_e32 v13, v16
	s_mov_b32 s26, 0
.LBB1_30:                               ;   Parent Loop BB1_6 Depth=1
                                        ; =>  This Inner Loop Header: Depth=2
	v_dual_add_nc_u32 v32, s24, v10 :: v_dual_add_nc_u32 v33, s24, v11
	v_add_nc_u32_e32 v10, 0x100, v10
	s_clause 0x1
	global_load_b64 v[26:27], v32, s[10:11] scale_offset
	global_load_b64 v[28:29], v33, s[10:11] scale_offset
	ds_load_2addr_stride64_b64 v[22:25], v12 offset1:2
	s_wait_dscnt 0x0
	v_dual_mov_b32 v31, v24 :: v_dual_add_nc_u32 v12, 0x800, v12
	v_dual_mov_b32 v24, v23 :: v_dual_mov_b32 v30, v22
	s_delay_alu instid0(VALU_DEP_1) | instskip(SKIP_1) | instid1(VALU_DEP_2)
	v_pk_mul_f32 v[22:23], v[8:9], v[24:25]
	v_pk_mul_f32 v[24:25], v[6:7], v[24:25]
	v_pk_fma_f32 v[22:23], v[6:7], v[30:31], v[22:23] neg_lo:[0,0,1] neg_hi:[0,0,1]
	s_delay_alu instid0(VALU_DEP_2) | instskip(SKIP_3) | instid1(VALU_DEP_2)
	v_pk_fma_f32 v[24:25], v[8:9], v[30:31], v[24:25]
	s_wait_loadcnt 0x0
	v_dual_mov_b32 v30, v26 :: v_dual_mov_b32 v31, v28
	v_mov_b32_e32 v28, v27
	v_pk_add_f32 v[22:23], v[30:31], v[22:23]
	s_delay_alu instid0(VALU_DEP_2) | instskip(SKIP_1) | instid1(VALU_DEP_3)
	v_pk_add_f32 v[24:25], v[24:25], v[28:29]
	v_add_nc_u32_e32 v13, -1, v13
	v_dual_mov_b32 v26, v22 :: v_dual_add_nc_u32 v11, 0x100, v11
	s_delay_alu instid0(VALU_DEP_3) | instskip(NEXT) | instid1(VALU_DEP_3)
	v_mov_b32_e32 v27, v24
	v_cmp_eq_u32_e32 vcc_lo, 0, v13
	v_mov_b32_e32 v24, v23
	s_clause 0x1
	global_store_b64 v32, v[26:27], s[10:11] scale_offset
	global_store_b64 v33, v[24:25], s[10:11] scale_offset
	s_or_b32 s26, vcc_lo, s26
	s_wait_xcnt 0x0
	s_and_not1_b32 exec_lo, exec_lo, s26
	s_cbranch_execnz .LBB1_30
.LBB1_31:                               ;   in Loop: Header=BB1_6 Depth=1
	s_or_b32 exec_lo, exec_lo, s25
	s_mov_b32 s24, 0
	s_and_saveexec_b32 s25, s5
	s_delay_alu instid0(SALU_CYCLE_1)
	s_xor_b32 s25, exec_lo, s25
; %bb.32:                               ;   in Loop: Header=BB1_6 Depth=1
	s_mov_b32 s24, exec_lo
; %bb.33:                               ;   in Loop: Header=BB1_6 Depth=1
	s_or_b32 exec_lo, exec_lo, s25
	v_mov_b32_e32 v22, v21
	s_and_b32 s24, s24, exec_lo
	s_or_saveexec_b32 s23, s23
	v_mov_b32_e32 v10, v15
	s_xor_b32 exec_lo, exec_lo, s23
	s_cbranch_execz .LBB1_23
.LBB1_34:                               ;   in Loop: Header=BB1_6 Depth=1
	v_dual_mov_b32 v10, v0 :: v_dual_mov_b32 v22, v2
	s_or_b32 s24, s24, exec_lo
	s_or_b32 exec_lo, exec_lo, s23
	s_delay_alu instid0(SALU_CYCLE_1)
	s_and_b32 exec_lo, exec_lo, s24
	s_cbranch_execz .LBB1_5
.LBB1_35:                               ;   in Loop: Header=BB1_6 Depth=1
	v_dual_ashrrev_i32 v11, 31, v10 :: v_dual_mov_b32 v9, v8
	s_add_nc_u64 s[18:19], s[14:15], s[18:19]
	v_mov_b32_e32 v7, v6
	s_delay_alu instid0(VALU_DEP_2)
	v_lshl_add_u64 v[12:13], v[10:11], 3, s[18:19]
	s_mov_b32 s18, 0
.LBB1_36:                               ;   Parent Loop BB1_6 Depth=1
                                        ; =>  This Inner Loop Header: Depth=2
	global_load_b64 v[24:25], v[12:13], off
	ds_load_b64 v[26:27], v22
	v_add_nc_u32_e32 v22, 0x400, v22
	v_add_nc_u32_e32 v10, 0x80, v10
	s_delay_alu instid0(VALU_DEP_1) | instskip(SKIP_3) | instid1(VALU_DEP_1)
	v_cmp_le_i32_e32 vcc_lo, s12, v10
	s_or_b32 s18, vcc_lo, s18
	s_wait_dscnt 0x0
	v_pk_mul_f32 v[28:29], v[8:9], v[26:27] op_sel:[0,1] op_sel_hi:[1,0]
	v_pk_fma_f32 v[30:31], v[6:7], v[26:27], v[28:29]
	v_pk_fma_f32 v[26:27], v[6:7], v[26:27], v[28:29] neg_lo:[0,0,1] neg_hi:[0,0,1]
	s_delay_alu instid0(VALU_DEP_2) | instskip(SKIP_1) | instid1(VALU_DEP_1)
	v_mov_b32_e32 v27, v31
	s_wait_loadcnt 0x0
	v_pk_add_f32 v[24:25], v[24:25], v[26:27]
	global_store_b64 v[12:13], v[24:25], off
	s_wait_xcnt 0x0
	v_add_nc_u64_e32 v[12:13], 0x400, v[12:13]
	s_and_not1_b32 exec_lo, exec_lo, s18
	s_cbranch_execnz .LBB1_36
	s_branch .LBB1_5
.LBB1_37:
	s_endpgm
	.section	.rodata,"a",@progbits
	.p2align	6, 0x0
	.amdhsa_kernel _ZN9rocsolver6v33100L22larf_left_kernel_smallILi128E19rocblas_complex_numIfEiPS3_EEvT1_S5_T2_lS5_lPKT0_lS6_lS5_l
		.amdhsa_group_segment_fixed_size 17408
		.amdhsa_private_segment_fixed_size 0
		.amdhsa_kernarg_size 88
		.amdhsa_user_sgpr_count 2
		.amdhsa_user_sgpr_dispatch_ptr 0
		.amdhsa_user_sgpr_queue_ptr 0
		.amdhsa_user_sgpr_kernarg_segment_ptr 1
		.amdhsa_user_sgpr_dispatch_id 0
		.amdhsa_user_sgpr_kernarg_preload_length 0
		.amdhsa_user_sgpr_kernarg_preload_offset 0
		.amdhsa_user_sgpr_private_segment_size 0
		.amdhsa_wavefront_size32 1
		.amdhsa_uses_dynamic_stack 0
		.amdhsa_enable_private_segment 0
		.amdhsa_system_sgpr_workgroup_id_x 1
		.amdhsa_system_sgpr_workgroup_id_y 1
		.amdhsa_system_sgpr_workgroup_id_z 0
		.amdhsa_system_sgpr_workgroup_info 0
		.amdhsa_system_vgpr_workitem_id 0
		.amdhsa_next_free_vgpr 36
		.amdhsa_next_free_sgpr 35
		.amdhsa_named_barrier_count 0
		.amdhsa_reserve_vcc 1
		.amdhsa_float_round_mode_32 0
		.amdhsa_float_round_mode_16_64 0
		.amdhsa_float_denorm_mode_32 3
		.amdhsa_float_denorm_mode_16_64 3
		.amdhsa_fp16_overflow 0
		.amdhsa_memory_ordered 1
		.amdhsa_forward_progress 1
		.amdhsa_inst_pref_size 22
		.amdhsa_round_robin_scheduling 0
		.amdhsa_exception_fp_ieee_invalid_op 0
		.amdhsa_exception_fp_denorm_src 0
		.amdhsa_exception_fp_ieee_div_zero 0
		.amdhsa_exception_fp_ieee_overflow 0
		.amdhsa_exception_fp_ieee_underflow 0
		.amdhsa_exception_fp_ieee_inexact 0
		.amdhsa_exception_int_div_zero 0
	.end_amdhsa_kernel
	.section	.text._ZN9rocsolver6v33100L22larf_left_kernel_smallILi128E19rocblas_complex_numIfEiPS3_EEvT1_S5_T2_lS5_lPKT0_lS6_lS5_l,"axG",@progbits,_ZN9rocsolver6v33100L22larf_left_kernel_smallILi128E19rocblas_complex_numIfEiPS3_EEvT1_S5_T2_lS5_lPKT0_lS6_lS5_l,comdat
.Lfunc_end1:
	.size	_ZN9rocsolver6v33100L22larf_left_kernel_smallILi128E19rocblas_complex_numIfEiPS3_EEvT1_S5_T2_lS5_lPKT0_lS6_lS5_l, .Lfunc_end1-_ZN9rocsolver6v33100L22larf_left_kernel_smallILi128E19rocblas_complex_numIfEiPS3_EEvT1_S5_T2_lS5_lPKT0_lS6_lS5_l
                                        ; -- End function
	.set _ZN9rocsolver6v33100L22larf_left_kernel_smallILi128E19rocblas_complex_numIfEiPS3_EEvT1_S5_T2_lS5_lPKT0_lS6_lS5_l.num_vgpr, 36
	.set _ZN9rocsolver6v33100L22larf_left_kernel_smallILi128E19rocblas_complex_numIfEiPS3_EEvT1_S5_T2_lS5_lPKT0_lS6_lS5_l.num_agpr, 0
	.set _ZN9rocsolver6v33100L22larf_left_kernel_smallILi128E19rocblas_complex_numIfEiPS3_EEvT1_S5_T2_lS5_lPKT0_lS6_lS5_l.numbered_sgpr, 35
	.set _ZN9rocsolver6v33100L22larf_left_kernel_smallILi128E19rocblas_complex_numIfEiPS3_EEvT1_S5_T2_lS5_lPKT0_lS6_lS5_l.num_named_barrier, 0
	.set _ZN9rocsolver6v33100L22larf_left_kernel_smallILi128E19rocblas_complex_numIfEiPS3_EEvT1_S5_T2_lS5_lPKT0_lS6_lS5_l.private_seg_size, 0
	.set _ZN9rocsolver6v33100L22larf_left_kernel_smallILi128E19rocblas_complex_numIfEiPS3_EEvT1_S5_T2_lS5_lPKT0_lS6_lS5_l.uses_vcc, 1
	.set _ZN9rocsolver6v33100L22larf_left_kernel_smallILi128E19rocblas_complex_numIfEiPS3_EEvT1_S5_T2_lS5_lPKT0_lS6_lS5_l.uses_flat_scratch, 0
	.set _ZN9rocsolver6v33100L22larf_left_kernel_smallILi128E19rocblas_complex_numIfEiPS3_EEvT1_S5_T2_lS5_lPKT0_lS6_lS5_l.has_dyn_sized_stack, 0
	.set _ZN9rocsolver6v33100L22larf_left_kernel_smallILi128E19rocblas_complex_numIfEiPS3_EEvT1_S5_T2_lS5_lPKT0_lS6_lS5_l.has_recursion, 0
	.set _ZN9rocsolver6v33100L22larf_left_kernel_smallILi128E19rocblas_complex_numIfEiPS3_EEvT1_S5_T2_lS5_lPKT0_lS6_lS5_l.has_indirect_call, 0
	.section	.AMDGPU.csdata,"",@progbits
; Kernel info:
; codeLenInByte = 2772
; TotalNumSgprs: 37
; NumVgprs: 36
; ScratchSize: 0
; MemoryBound: 0
; FloatMode: 240
; IeeeMode: 1
; LDSByteSize: 17408 bytes/workgroup (compile time only)
; SGPRBlocks: 0
; VGPRBlocks: 2
; NumSGPRsForWavesPerEU: 37
; NumVGPRsForWavesPerEU: 36
; NamedBarCnt: 0
; Occupancy: 16
; WaveLimiterHint : 0
; COMPUTE_PGM_RSRC2:SCRATCH_EN: 0
; COMPUTE_PGM_RSRC2:USER_SGPR: 2
; COMPUTE_PGM_RSRC2:TRAP_HANDLER: 0
; COMPUTE_PGM_RSRC2:TGID_X_EN: 1
; COMPUTE_PGM_RSRC2:TGID_Y_EN: 1
; COMPUTE_PGM_RSRC2:TGID_Z_EN: 0
; COMPUTE_PGM_RSRC2:TIDIG_COMP_CNT: 0
	.section	.text._ZN9rocsolver6v33100L22larf_left_kernel_smallILi256E19rocblas_complex_numIfEiPS3_EEvT1_S5_T2_lS5_lPKT0_lS6_lS5_l,"axG",@progbits,_ZN9rocsolver6v33100L22larf_left_kernel_smallILi256E19rocblas_complex_numIfEiPS3_EEvT1_S5_T2_lS5_lPKT0_lS6_lS5_l,comdat
	.globl	_ZN9rocsolver6v33100L22larf_left_kernel_smallILi256E19rocblas_complex_numIfEiPS3_EEvT1_S5_T2_lS5_lPKT0_lS6_lS5_l ; -- Begin function _ZN9rocsolver6v33100L22larf_left_kernel_smallILi256E19rocblas_complex_numIfEiPS3_EEvT1_S5_T2_lS5_lPKT0_lS6_lS5_l
	.p2align	8
	.type	_ZN9rocsolver6v33100L22larf_left_kernel_smallILi256E19rocblas_complex_numIfEiPS3_EEvT1_S5_T2_lS5_lPKT0_lS6_lS5_l,@function
_ZN9rocsolver6v33100L22larf_left_kernel_smallILi256E19rocblas_complex_numIfEiPS3_EEvT1_S5_T2_lS5_lPKT0_lS6_lS5_l: ; @_ZN9rocsolver6v33100L22larf_left_kernel_smallILi256E19rocblas_complex_numIfEiPS3_EEvT1_S5_T2_lS5_lPKT0_lS6_lS5_l
; %bb.0:
	s_clause 0x2
	s_load_b64 s[12:13], s[0:1], 0x0
	s_load_b256 s[4:11], s[0:1], 0x20
	s_load_b64 s[16:17], s[0:1], 0x40
	s_bfe_u32 s2, ttmp6, 0x4000c
	s_and_b32 s14, ttmp6, 15
	s_add_co_i32 s2, s2, 1
	s_getreg_b32 s3, hwreg(HW_REG_IB_STS2, 6, 4)
	s_mul_i32 s2, ttmp9, s2
	v_lshlrev_b32_e32 v2, 3, v0
	s_add_co_i32 s14, s14, s2
	s_cmp_eq_u32 s3, 0
	s_mov_b32 s18, 0
	s_cselect_b32 s14, ttmp9, s14
	s_delay_alu instid0(SALU_CYCLE_1)
	s_ashr_i32 s15, s14, 31
	s_wait_kmcnt 0x0
	v_cmp_gt_i32_e64 s2, s12, v0
	s_and_saveexec_b32 s19, s2
	s_cbranch_execz .LBB2_3
; %bb.1:
	s_clause 0x1
	s_load_b128 s[20:23], s[0:1], 0x8
	s_load_b32 s24, s[0:1], 0x18
	s_mul_u64 s[4:5], s[4:5], s[14:15]
	s_sub_co_i32 s25, 1, s12
	s_lshl_b64 s[4:5], s[4:5], 3
	v_dual_mov_b32 v4, v0 :: v_dual_lshlrev_b32 v3, 3, v0
	s_wait_kmcnt 0x0
	s_lshl_b64 s[22:23], s[22:23], 3
	s_mul_i32 s25, s24, s25
	s_cmp_lt_i32 s24, 1
	s_add_nc_u64 s[4:5], s[20:21], s[4:5]
	s_cselect_b32 s25, s25, 0
	s_add_nc_u64 s[4:5], s[4:5], s[22:23]
	v_mad_u32 v1, v0, s24, s25
	s_lshl_b32 s20, s24, 8
.LBB2_2:                                ; =>This Inner Loop Header: Depth=1
	global_load_b64 v[6:7], v1, s[4:5] scale_offset
	v_add_nc_u32_e32 v4, 0x100, v4
	s_wait_xcnt 0x0
	v_add_nc_u32_e32 v1, s20, v1
	s_delay_alu instid0(VALU_DEP_2)
	v_cmp_le_i32_e32 vcc_lo, s12, v4
	s_or_b32 s18, vcc_lo, s18
	s_wait_loadcnt 0x0
	ds_store_b64 v3, v[6:7]
	v_add_nc_u32_e32 v3, 0x800, v3
	s_and_not1_b32 exec_lo, exec_lo, s18
	s_cbranch_execnz .LBB2_2
.LBB2_3:
	s_or_b32 exec_lo, exec_lo, s19
	s_bfe_u32 s4, ttmp6, 0x40010
	s_bfe_u32 s5, ttmp6, 0x40004
	s_add_co_i32 s4, s4, 1
	s_wait_dscnt 0x0
	s_mul_i32 s4, ttmp7, s4
	s_barrier_signal -1
	s_add_co_i32 s5, s5, s4
	s_cmp_eq_u32 s3, 0
	s_barrier_wait -1
	s_cselect_b32 s20, ttmp7, s5
	s_delay_alu instid0(SALU_CYCLE_1)
	s_cmp_ge_i32 s20, s13
	s_cbranch_scc1 .LBB2_37
; %bb.4:
	v_xad_u32 v3, v0, -1, s12
	s_clause 0x1
	s_load_b64 s[18:19], s[0:1], 0x50
	s_load_b32 s21, s[0:1], 0x48
	s_mul_u64 s[4:5], s[8:9], s[14:15]
	s_lshl_b64 s[16:17], s[16:17], 3
	v_dual_lshrrev_b32 v1, 8, v3 :: v_dual_bitop2_b32 v4, 31, v0 bitop3:0x40
	v_lshrrev_b32_e32 v6, 2, v0
	s_lshl_b64 s[4:5], s[4:5], 3
	v_cmp_lt_u32_e64 s3, 0xff, v3
	s_delay_alu instid0(VALU_DEP_3)
	v_add_nc_u32_e32 v5, -1, v1
	s_wait_xcnt 0x0
	v_cmp_eq_u32_e64 s1, 0, v4
	s_add_nc_u64 s[8:9], s[6:7], s[4:5]
	v_mbcnt_lo_u32_b32 v17, -1, 0
	v_cmp_eq_u32_e64 s0, 0, v0
	v_lshrrev_b32_e32 v4, 1, v5
	v_add_nc_u32_e32 v7, 1, v1
	v_cmp_lt_u32_e64 s4, 5, v5
	v_or_b32_e32 v1, 0x100, v0
	v_lshl_or_b32 v18, v17, 2, 64
	v_add_nc_u32_e32 v3, 1, v4
	v_and_b32_e32 v8, 0x1fffffe, v7
	s_wait_kmcnt 0x0
	s_mul_u64 s[6:7], s[18:19], s[14:15]
	v_or_b32_e32 v19, 0x4000, v6
	s_lshl_b64 s[6:7], s[6:7], 3
	v_and_b32_e32 v15, 3, v3
	v_dual_mov_b32 v3, 0 :: v_dual_bitop2_b32 v16, -4, v3 bitop3:0x40
	s_add_nc_u64 s[14:15], s[10:11], s[6:7]
	s_add_nc_u64 s[6:7], s[6:7], s[16:17]
	v_lshl_or_b32 v14, v8, 8, v0
	s_add_nc_u64 s[10:11], s[10:11], s[6:7]
	v_cmp_ne_u32_e64 s5, 0, v15
	v_add_nc_u64_e32 v[4:5], s[10:11], v[2:3]
	v_cmp_ne_u32_e64 s6, v7, v8
	v_dual_mov_b32 v20, 0x4008 :: v_dual_lshlrev_b32 v23, 3, v14
	v_mov_b32_e32 v21, 0x4018
	v_mov_b32_e32 v22, 0x4028
	s_cmp_gt_i32 s12, 1
	s_add_nc_u64 s[14:15], s[14:15], s[16:17]
	s_cselect_b32 s7, -1, 0
	s_mul_i32 s16, s20, s21
	s_lshl_b32 s22, s21, 6
	s_branch .LBB2_6
.LBB2_5:                                ;   in Loop: Header=BB2_6 Depth=1
	s_or_b32 exec_lo, exec_lo, s17
	s_add_co_i32 s20, s20, 64
	s_add_co_i32 s16, s16, s22
	s_cmp_ge_i32 s20, s13
	s_cbranch_scc1 .LBB2_37
.LBB2_6:                                ; =>This Loop Header: Depth=1
                                        ;     Child Loop BB2_8 Depth 2
                                        ;     Child Loop BB2_26 Depth 2
	;; [unrolled: 1-line block ×4, first 2 shown]
	v_mov_b64_e32 v[6:7], 0
	s_ashr_i32 s17, s16, 31
	s_delay_alu instid0(SALU_CYCLE_1)
	s_lshl_b64 s[18:19], s[16:17], 3
	s_and_saveexec_b32 s17, s2
	s_cbranch_execz .LBB2_10
; %bb.7:                                ;   in Loop: Header=BB2_6 Depth=1
	v_dual_mov_b32 v6, 0 :: v_dual_mov_b32 v10, v2
	v_add_nc_u64_e32 v[8:9], s[18:19], v[4:5]
	v_mov_b32_e32 v11, v0
	s_mov_b32 s23, 0
	s_delay_alu instid0(VALU_DEP_3)
	v_mov_b32_e32 v7, v6
.LBB2_8:                                ;   Parent Loop BB2_6 Depth=1
                                        ; =>  This Inner Loop Header: Depth=2
	global_load_b64 v[12:13], v[8:9], off
	ds_load_b64 v[24:25], v10
	s_wait_xcnt 0x0
	v_add_nc_u64_e32 v[8:9], 0x800, v[8:9]
	v_add_nc_u32_e32 v11, 0x100, v11
	v_add_nc_u32_e32 v10, 0x800, v10
	s_delay_alu instid0(VALU_DEP_2)
	v_cmp_le_i32_e32 vcc_lo, s12, v11
	s_or_b32 s23, vcc_lo, s23
	s_wait_dscnt 0x0
	v_mov_b32_e32 v28, v25
	s_wait_loadcnt 0x0
	v_pk_mul_f32 v[26:27], v[12:13], v[24:25] op_sel_hi:[1,0]
	s_delay_alu instid0(VALU_DEP_1) | instskip(NEXT) | instid1(VALU_DEP_3)
	v_pk_fma_f32 v[24:25], v[12:13], v[24:25], v[26:27] op_sel:[1,1,0] op_sel_hi:[0,1,1] neg_lo:[0,0,1] neg_hi:[0,0,1]
	v_pk_fma_f32 v[12:13], v[12:13], v[28:29], v[26:27] op_sel:[1,0,0] op_sel_hi:[0,1,1]
	s_delay_alu instid0(VALU_DEP_2) | instskip(NEXT) | instid1(VALU_DEP_1)
	v_mov_b32_e32 v13, v25
	v_pk_add_f32 v[6:7], v[6:7], v[12:13]
	s_and_not1_b32 exec_lo, exec_lo, s23
	s_cbranch_execnz .LBB2_8
; %bb.9:                                ;   in Loop: Header=BB2_6 Depth=1
	s_or_b32 exec_lo, exec_lo, s23
.LBB2_10:                               ;   in Loop: Header=BB2_6 Depth=1
	s_delay_alu instid0(SALU_CYCLE_1) | instskip(NEXT) | instid1(SALU_CYCLE_1)
	s_or_b32 exec_lo, exec_lo, s17
	s_and_b32 vcc_lo, exec_lo, s7
	s_cbranch_vccz .LBB2_17
; %bb.11:                               ;   in Loop: Header=BB2_6 Depth=1
	v_cmp_ne_u32_e32 vcc_lo, 31, v17
	v_add_co_ci_u32_e64 v8, null, 0, v17, vcc_lo
	v_cmp_gt_u32_e32 vcc_lo, 30, v17
	s_delay_alu instid0(VALU_DEP_2)
	v_lshlrev_b32_e32 v9, 2, v8
	v_cndmask_b32_e64 v10, 0, 2, vcc_lo
	v_cmp_gt_u32_e32 vcc_lo, 28, v17
	ds_bpermute_b32 v8, v9, v6
	ds_bpermute_b32 v9, v9, v7
	v_add_lshl_u32 v11, v10, v17, 2
	v_cndmask_b32_e64 v12, 0, 4, vcc_lo
	v_cmp_gt_u32_e32 vcc_lo, 24, v17
	s_delay_alu instid0(VALU_DEP_2)
	v_add_lshl_u32 v12, v12, v17, 2
	s_wait_dscnt 0x0
	v_pk_add_f32 v[8:9], v[6:7], v[8:9]
	ds_bpermute_b32 v10, v11, v8
	ds_bpermute_b32 v11, v11, v9
	s_wait_dscnt 0x0
	v_pk_add_f32 v[8:9], v[8:9], v[10:11]
	ds_bpermute_b32 v10, v12, v8
	ds_bpermute_b32 v11, v12, v9
	v_cndmask_b32_e64 v12, 0, 8, vcc_lo
	s_delay_alu instid0(VALU_DEP_1)
	v_add_lshl_u32 v12, v12, v17, 2
	s_wait_dscnt 0x0
	v_pk_add_f32 v[8:9], v[8:9], v[10:11]
	ds_bpermute_b32 v10, v12, v8
	ds_bpermute_b32 v11, v12, v9
	s_wait_dscnt 0x0
	v_pk_add_f32 v[8:9], v[8:9], v[10:11]
	ds_bpermute_b32 v10, v18, v8
	ds_bpermute_b32 v11, v18, v9
	s_wait_dscnt 0x0
	v_pk_add_f32 v[8:9], v[8:9], v[10:11]
	s_and_saveexec_b32 s17, s1
; %bb.12:                               ;   in Loop: Header=BB2_6 Depth=1
	ds_store_2addr_b32 v19, v8, v9 offset1:1
; %bb.13:                               ;   in Loop: Header=BB2_6 Depth=1
	s_or_b32 exec_lo, exec_lo, s17
	s_mov_b32 s23, 0
	s_mov_b32 s17, 0
	s_wait_dscnt 0x0
	s_barrier_signal -1
	s_barrier_wait -1
                                        ; implicit-def: $vgpr10_vgpr11
	s_and_saveexec_b32 s24, s0
	s_delay_alu instid0(SALU_CYCLE_1)
	s_xor_b32 s24, exec_lo, s24
	s_cbranch_execz .LBB2_15
; %bb.14:                               ;   in Loop: Header=BB2_6 Depth=1
	ds_load_2addr_b64 v[10:13], v20 offset1:1
	ds_load_2addr_b64 v[24:27], v21 offset1:1
	s_mov_b32 s17, exec_lo
	s_wait_dscnt 0x1
	v_pk_add_f32 v[28:29], v[8:9], v[10:11]
	ds_load_2addr_b64 v[8:11], v22 offset1:1
	v_pk_add_f32 v[12:13], v[28:29], v[12:13]
	s_wait_dscnt 0x1
	s_delay_alu instid0(VALU_DEP_1) | instskip(SKIP_3) | instid1(VALU_DEP_1)
	v_pk_add_f32 v[12:13], v[12:13], v[24:25]
	ds_load_b64 v[24:25], v3 offset:16440
	v_pk_add_f32 v[12:13], v[12:13], v[26:27]
	s_wait_dscnt 0x1
	v_pk_add_f32 v[8:9], v[12:13], v[8:9]
	s_delay_alu instid0(VALU_DEP_1) | instskip(SKIP_1) | instid1(VALU_DEP_1)
	v_pk_add_f32 v[8:9], v[8:9], v[10:11]
	s_wait_dscnt 0x0
	v_pk_add_f32 v[10:11], v[8:9], v[24:25]
.LBB2_15:                               ;   in Loop: Header=BB2_6 Depth=1
	s_or_b32 exec_lo, exec_lo, s24
	s_delay_alu instid0(SALU_CYCLE_1)
	s_and_b32 vcc_lo, exec_lo, s23
	s_cbranch_vccnz .LBB2_18
.LBB2_16:                               ;   in Loop: Header=BB2_6 Depth=1
	s_delay_alu instid0(VALU_DEP_1)
	v_mov_b64_e32 v[6:7], v[10:11]
	s_and_saveexec_b32 s23, s17
	s_cbranch_execnz .LBB2_19
	s_branch .LBB2_20
.LBB2_17:                               ;   in Loop: Header=BB2_6 Depth=1
	s_mov_b32 s17, 0
                                        ; implicit-def: $vgpr10_vgpr11
	s_cbranch_execz .LBB2_16
.LBB2_18:                               ;   in Loop: Header=BB2_6 Depth=1
	s_and_not1_b32 s17, s17, exec_lo
	s_and_b32 s23, s0, exec_lo
	s_delay_alu instid0(SALU_CYCLE_1) | instskip(NEXT) | instid1(SALU_CYCLE_1)
	s_or_b32 s17, s17, s23
	s_and_saveexec_b32 s23, s17
.LBB2_19:                               ;   in Loop: Header=BB2_6 Depth=1
	ds_store_b64 v3, v[6:7] offset:16384
.LBB2_20:                               ;   in Loop: Header=BB2_6 Depth=1
	s_or_b32 exec_lo, exec_lo, s23
	s_wait_dscnt 0x0
	s_barrier_signal -1
	s_barrier_wait -1
	s_and_saveexec_b32 s17, s2
	s_cbranch_execz .LBB2_5
; %bb.21:                               ;   in Loop: Header=BB2_6 Depth=1
	global_load_b64 v[10:11], v3, s[8:9]
	ds_load_b64 v[12:13], v3 offset:16384
	s_mov_b32 s24, 0
                                        ; implicit-def: $vgpr24
	s_wait_loadcnt_dscnt 0x0
	v_dual_mul_f32 v6, v11, v13 :: v_dual_mul_f32 v7, v11, v12
	v_xor_b32_e32 v9, 0x80000000, v10
	s_delay_alu instid0(VALU_DEP_2) | instskip(NEXT) | instid1(VALU_DEP_3)
	v_xor_b32_e32 v6, 0x80000000, v6
	v_xor_b32_e32 v8, 0x80000000, v7
	s_delay_alu instid0(VALU_DEP_2) | instskip(NEXT) | instid1(VALU_DEP_2)
	v_fmac_f32_e32 v6, v12, v9
	v_fmac_f32_e32 v8, v10, v13
	s_wait_xcnt 0x0
	s_and_saveexec_b32 s23, s3
	s_delay_alu instid0(SALU_CYCLE_1)
	s_xor_b32 s23, exec_lo, s23
	s_cbranch_execnz .LBB2_24
; %bb.22:                               ;   in Loop: Header=BB2_6 Depth=1
	s_or_saveexec_b32 s23, s23
	v_mov_b32_e32 v10, v14
	s_xor_b32 exec_lo, exec_lo, s23
	s_cbranch_execnz .LBB2_34
.LBB2_23:                               ;   in Loop: Header=BB2_6 Depth=1
	s_or_b32 exec_lo, exec_lo, s23
	s_delay_alu instid0(SALU_CYCLE_1)
	s_and_b32 exec_lo, exec_lo, s24
	s_cbranch_execz .LBB2_5
	s_branch .LBB2_35
.LBB2_24:                               ;   in Loop: Header=BB2_6 Depth=1
	v_mov_b64_e32 v[10:11], v[0:1]
	v_dual_mov_b32 v7, v6 :: v_dual_mov_b32 v9, v8
	v_mov_b32_e32 v24, 0
	s_mul_i32 s24, s20, s21
	s_and_saveexec_b32 s25, s4
	s_cbranch_execz .LBB2_28
; %bb.25:                               ;   in Loop: Header=BB2_6 Depth=1
	v_mov_b64_e32 v[10:11], v[0:1]
	v_dual_mov_b32 v12, v16 :: v_dual_mov_b32 v13, v2
	s_add_co_i32 s26, s24, 0x200
	s_add_co_i32 s27, s24, 0x400
	;; [unrolled: 1-line block ×3, first 2 shown]
	s_mov_b32 s28, s26
	s_mov_b32 s29, s27
	;; [unrolled: 1-line block ×5, first 2 shown]
.LBB2_26:                               ;   Parent Loop BB2_6 Depth=1
                                        ; =>  This Inner Loop Header: Depth=2
	v_dual_add_nc_u32 v34, s24, v10 :: v_dual_add_nc_u32 v35, s24, v11
	v_dual_add_nc_u32 v36, s28, v11 :: v_dual_add_nc_u32 v37, s26, v10
	s_add_co_i32 s34, s34, 8
	s_clause 0x1
	global_load_b64 v[28:29], v34, s[14:15] scale_offset
	global_load_b64 v[30:31], v35, s[14:15] scale_offset
	ds_load_2addr_stride64_b64 v[24:27], v13 offset1:4
	s_wait_dscnt 0x0
	v_dual_mov_b32 v33, v26 :: v_dual_mov_b32 v26, v25
	v_mov_b32_e32 v32, v24
	s_delay_alu instid0(VALU_DEP_2) | instskip(SKIP_1) | instid1(VALU_DEP_2)
	v_pk_mul_f32 v[24:25], v[8:9], v[26:27]
	v_pk_mul_f32 v[26:27], v[6:7], v[26:27]
	v_pk_fma_f32 v[24:25], v[6:7], v[32:33], v[24:25] neg_lo:[0,0,1] neg_hi:[0,0,1]
	s_delay_alu instid0(VALU_DEP_2) | instskip(SKIP_3) | instid1(VALU_DEP_2)
	v_pk_fma_f32 v[26:27], v[8:9], v[32:33], v[26:27]
	s_wait_loadcnt 0x0
	v_dual_mov_b32 v32, v28 :: v_dual_mov_b32 v33, v30
	v_mov_b32_e32 v30, v29
	v_pk_add_f32 v[24:25], v[32:33], v[24:25]
	s_delay_alu instid0(VALU_DEP_2) | instskip(NEXT) | instid1(VALU_DEP_1)
	v_pk_add_f32 v[26:27], v[26:27], v[30:31]
	v_dual_mov_b32 v28, v24 :: v_dual_mov_b32 v29, v26
	s_delay_alu instid0(VALU_DEP_3)
	v_mov_b32_e32 v26, v25
	s_clause 0x3
	global_store_b64 v34, v[28:29], s[14:15] scale_offset
	global_store_b64 v35, v[26:27], s[14:15] scale_offset
	global_load_b64 v[28:29], v37, s[14:15] scale_offset
	global_load_b64 v[30:31], v36, s[14:15] scale_offset
	s_wait_xcnt 0x2
	ds_load_2addr_stride64_b64 v[24:27], v13 offset0:8 offset1:12
	v_dual_add_nc_u32 v35, s27, v10 :: v_dual_add_nc_u32 v34, s29, v11
	s_wait_dscnt 0x0
	v_dual_mov_b32 v33, v26 :: v_dual_mov_b32 v26, v25
	v_mov_b32_e32 v32, v24
	s_delay_alu instid0(VALU_DEP_2) | instskip(SKIP_1) | instid1(VALU_DEP_2)
	v_pk_mul_f32 v[24:25], v[8:9], v[26:27]
	v_pk_mul_f32 v[26:27], v[6:7], v[26:27]
	v_pk_fma_f32 v[24:25], v[6:7], v[32:33], v[24:25] neg_lo:[0,0,1] neg_hi:[0,0,1]
	s_delay_alu instid0(VALU_DEP_2) | instskip(SKIP_2) | instid1(VALU_DEP_1)
	v_pk_fma_f32 v[26:27], v[8:9], v[32:33], v[26:27]
	s_wait_loadcnt 0x0
	v_dual_mov_b32 v32, v28 :: v_dual_mov_b32 v33, v30
	v_pk_add_f32 v[24:25], v[32:33], v[24:25]
	s_delay_alu instid0(VALU_DEP_1) | instskip(NEXT) | instid1(VALU_DEP_1)
	v_dual_mov_b32 v30, v29 :: v_dual_mov_b32 v28, v24
	v_pk_add_f32 v[26:27], v[26:27], v[30:31]
	s_delay_alu instid0(VALU_DEP_1)
	v_dual_mov_b32 v29, v26 :: v_dual_mov_b32 v26, v25
	s_clause 0x3
	global_store_b64 v37, v[28:29], s[14:15] scale_offset
	global_store_b64 v36, v[26:27], s[14:15] scale_offset
	global_load_b64 v[28:29], v35, s[14:15] scale_offset
	global_load_b64 v[30:31], v34, s[14:15] scale_offset
	s_wait_xcnt 0x2
	ds_load_2addr_stride64_b64 v[24:27], v13 offset0:16 offset1:20
	v_dual_add_nc_u32 v36, s33, v11 :: v_dual_add_nc_u32 v37, s30, v10
	v_add_nc_u32_e32 v11, 0x800, v11
	s_wait_dscnt 0x0
	v_dual_mov_b32 v33, v26 :: v_dual_mov_b32 v26, v25
	v_mov_b32_e32 v32, v24
	s_delay_alu instid0(VALU_DEP_2) | instskip(SKIP_1) | instid1(VALU_DEP_2)
	v_pk_mul_f32 v[24:25], v[8:9], v[26:27]
	v_pk_mul_f32 v[26:27], v[6:7], v[26:27]
	v_pk_fma_f32 v[24:25], v[6:7], v[32:33], v[24:25] neg_lo:[0,0,1] neg_hi:[0,0,1]
	s_delay_alu instid0(VALU_DEP_2) | instskip(SKIP_3) | instid1(VALU_DEP_2)
	v_pk_fma_f32 v[26:27], v[8:9], v[32:33], v[26:27]
	s_wait_loadcnt 0x0
	v_dual_mov_b32 v32, v28 :: v_dual_mov_b32 v33, v30
	v_mov_b32_e32 v30, v29
	v_pk_add_f32 v[24:25], v[32:33], v[24:25]
	s_delay_alu instid0(VALU_DEP_2) | instskip(NEXT) | instid1(VALU_DEP_1)
	v_pk_add_f32 v[26:27], v[26:27], v[30:31]
	v_dual_mov_b32 v28, v24 :: v_dual_mov_b32 v29, v26
	s_delay_alu instid0(VALU_DEP_3)
	v_mov_b32_e32 v26, v25
	s_clause 0x3
	global_store_b64 v35, v[28:29], s[14:15] scale_offset
	global_store_b64 v34, v[26:27], s[14:15] scale_offset
	global_load_b64 v[28:29], v37, s[14:15] scale_offset
	global_load_b64 v[30:31], v36, s[14:15] scale_offset
	s_wait_xcnt 0x2
	ds_load_2addr_stride64_b64 v[24:27], v13 offset0:24 offset1:28
	s_wait_dscnt 0x0
	v_dual_mov_b32 v33, v26 :: v_dual_mov_b32 v26, v25
	v_mov_b32_e32 v32, v24
	s_delay_alu instid0(VALU_DEP_2) | instskip(SKIP_1) | instid1(VALU_DEP_2)
	v_pk_mul_f32 v[24:25], v[8:9], v[26:27]
	v_pk_mul_f32 v[26:27], v[6:7], v[26:27]
	v_pk_fma_f32 v[24:25], v[6:7], v[32:33], v[24:25] neg_lo:[0,0,1] neg_hi:[0,0,1]
	s_delay_alu instid0(VALU_DEP_2) | instskip(SKIP_3) | instid1(VALU_DEP_2)
	v_pk_fma_f32 v[26:27], v[8:9], v[32:33], v[26:27]
	s_wait_loadcnt 0x0
	v_dual_mov_b32 v32, v28 :: v_dual_mov_b32 v33, v30
	v_mov_b32_e32 v30, v29
	v_pk_add_f32 v[24:25], v[32:33], v[24:25]
	v_add_nc_u32_e32 v12, -4, v12
	s_delay_alu instid0(VALU_DEP_3) | instskip(SKIP_1) | instid1(VALU_DEP_4)
	v_pk_add_f32 v[26:27], v[26:27], v[30:31]
	v_add_nc_u32_e32 v10, 0x800, v10
	v_dual_mov_b32 v28, v24 :: v_dual_add_nc_u32 v13, 0x4000, v13
	s_delay_alu instid0(VALU_DEP_4) | instskip(NEXT) | instid1(VALU_DEP_4)
	v_cmp_eq_u32_e32 vcc_lo, 0, v12
	v_dual_mov_b32 v29, v26 :: v_dual_mov_b32 v24, s34
	v_mov_b32_e32 v26, v25
	s_clause 0x1
	global_store_b64 v37, v[28:29], s[14:15] scale_offset
	global_store_b64 v36, v[26:27], s[14:15] scale_offset
	s_or_b32 s31, vcc_lo, s31
	s_wait_xcnt 0x0
	s_and_not1_b32 exec_lo, exec_lo, s31
	s_cbranch_execnz .LBB2_26
; %bb.27:                               ;   in Loop: Header=BB2_6 Depth=1
	s_or_b32 exec_lo, exec_lo, s31
.LBB2_28:                               ;   in Loop: Header=BB2_6 Depth=1
	s_delay_alu instid0(SALU_CYCLE_1)
	s_or_b32 exec_lo, exec_lo, s25
	s_and_saveexec_b32 s25, s5
	s_cbranch_execz .LBB2_31
; %bb.29:                               ;   in Loop: Header=BB2_6 Depth=1
	v_lshl_or_b32 v12, v24, 11, v2
	v_mov_b32_e32 v13, v15
	s_mov_b32 s26, 0
.LBB2_30:                               ;   Parent Loop BB2_6 Depth=1
                                        ; =>  This Inner Loop Header: Depth=2
	v_dual_add_nc_u32 v34, s24, v10 :: v_dual_add_nc_u32 v35, s24, v11
	v_add_nc_u32_e32 v10, 0x200, v10
	s_clause 0x1
	global_load_b64 v[28:29], v34, s[14:15] scale_offset
	global_load_b64 v[30:31], v35, s[14:15] scale_offset
	ds_load_2addr_stride64_b64 v[24:27], v12 offset1:4
	s_wait_dscnt 0x0
	v_dual_mov_b32 v33, v26 :: v_dual_add_nc_u32 v12, 0x1000, v12
	v_dual_mov_b32 v26, v25 :: v_dual_mov_b32 v32, v24
	s_delay_alu instid0(VALU_DEP_1) | instskip(SKIP_1) | instid1(VALU_DEP_2)
	v_pk_mul_f32 v[24:25], v[8:9], v[26:27]
	v_pk_mul_f32 v[26:27], v[6:7], v[26:27]
	v_pk_fma_f32 v[24:25], v[6:7], v[32:33], v[24:25] neg_lo:[0,0,1] neg_hi:[0,0,1]
	s_delay_alu instid0(VALU_DEP_2) | instskip(SKIP_3) | instid1(VALU_DEP_2)
	v_pk_fma_f32 v[26:27], v[8:9], v[32:33], v[26:27]
	s_wait_loadcnt 0x0
	v_dual_mov_b32 v32, v28 :: v_dual_mov_b32 v33, v30
	v_mov_b32_e32 v30, v29
	v_pk_add_f32 v[24:25], v[32:33], v[24:25]
	s_delay_alu instid0(VALU_DEP_2) | instskip(SKIP_1) | instid1(VALU_DEP_3)
	v_pk_add_f32 v[26:27], v[26:27], v[30:31]
	v_add_nc_u32_e32 v13, -1, v13
	v_dual_mov_b32 v28, v24 :: v_dual_add_nc_u32 v11, 0x200, v11
	s_delay_alu instid0(VALU_DEP_3) | instskip(NEXT) | instid1(VALU_DEP_3)
	v_mov_b32_e32 v29, v26
	v_cmp_eq_u32_e32 vcc_lo, 0, v13
	v_mov_b32_e32 v26, v25
	s_clause 0x1
	global_store_b64 v34, v[28:29], s[14:15] scale_offset
	global_store_b64 v35, v[26:27], s[14:15] scale_offset
	s_or_b32 s26, vcc_lo, s26
	s_wait_xcnt 0x0
	s_and_not1_b32 exec_lo, exec_lo, s26
	s_cbranch_execnz .LBB2_30
.LBB2_31:                               ;   in Loop: Header=BB2_6 Depth=1
	s_or_b32 exec_lo, exec_lo, s25
	s_mov_b32 s24, 0
	s_and_saveexec_b32 s25, s6
	s_delay_alu instid0(SALU_CYCLE_1)
	s_xor_b32 s25, exec_lo, s25
; %bb.32:                               ;   in Loop: Header=BB2_6 Depth=1
	s_mov_b32 s24, exec_lo
; %bb.33:                               ;   in Loop: Header=BB2_6 Depth=1
	s_or_b32 exec_lo, exec_lo, s25
	v_mov_b32_e32 v24, v23
	s_and_b32 s24, s24, exec_lo
	s_or_saveexec_b32 s23, s23
	v_mov_b32_e32 v10, v14
	s_xor_b32 exec_lo, exec_lo, s23
	s_cbranch_execz .LBB2_23
.LBB2_34:                               ;   in Loop: Header=BB2_6 Depth=1
	v_dual_mov_b32 v10, v0 :: v_dual_mov_b32 v24, v2
	s_or_b32 s24, s24, exec_lo
	s_or_b32 exec_lo, exec_lo, s23
	s_delay_alu instid0(SALU_CYCLE_1)
	s_and_b32 exec_lo, exec_lo, s24
	s_cbranch_execz .LBB2_5
.LBB2_35:                               ;   in Loop: Header=BB2_6 Depth=1
	v_dual_ashrrev_i32 v11, 31, v10 :: v_dual_mov_b32 v9, v8
	s_add_nc_u64 s[18:19], s[10:11], s[18:19]
	v_mov_b32_e32 v7, v6
	s_delay_alu instid0(VALU_DEP_2)
	v_lshl_add_u64 v[12:13], v[10:11], 3, s[18:19]
	s_mov_b32 s18, 0
.LBB2_36:                               ;   Parent Loop BB2_6 Depth=1
                                        ; =>  This Inner Loop Header: Depth=2
	global_load_b64 v[26:27], v[12:13], off
	ds_load_b64 v[28:29], v24
	v_add_nc_u32_e32 v24, 0x800, v24
	v_add_nc_u32_e32 v10, 0x100, v10
	s_delay_alu instid0(VALU_DEP_1) | instskip(SKIP_3) | instid1(VALU_DEP_1)
	v_cmp_le_i32_e32 vcc_lo, s12, v10
	s_or_b32 s18, vcc_lo, s18
	s_wait_dscnt 0x0
	v_pk_mul_f32 v[30:31], v[8:9], v[28:29] op_sel:[0,1] op_sel_hi:[1,0]
	v_pk_fma_f32 v[32:33], v[6:7], v[28:29], v[30:31]
	v_pk_fma_f32 v[28:29], v[6:7], v[28:29], v[30:31] neg_lo:[0,0,1] neg_hi:[0,0,1]
	s_delay_alu instid0(VALU_DEP_2) | instskip(SKIP_1) | instid1(VALU_DEP_1)
	v_mov_b32_e32 v29, v33
	s_wait_loadcnt 0x0
	v_pk_add_f32 v[26:27], v[26:27], v[28:29]
	global_store_b64 v[12:13], v[26:27], off
	s_wait_xcnt 0x0
	v_add_nc_u64_e32 v[12:13], 0x800, v[12:13]
	s_and_not1_b32 exec_lo, exec_lo, s18
	s_cbranch_execnz .LBB2_36
	s_branch .LBB2_5
.LBB2_37:
	s_endpgm
	.section	.rodata,"a",@progbits
	.p2align	6, 0x0
	.amdhsa_kernel _ZN9rocsolver6v33100L22larf_left_kernel_smallILi256E19rocblas_complex_numIfEiPS3_EEvT1_S5_T2_lS5_lPKT0_lS6_lS5_l
		.amdhsa_group_segment_fixed_size 18432
		.amdhsa_private_segment_fixed_size 0
		.amdhsa_kernarg_size 88
		.amdhsa_user_sgpr_count 2
		.amdhsa_user_sgpr_dispatch_ptr 0
		.amdhsa_user_sgpr_queue_ptr 0
		.amdhsa_user_sgpr_kernarg_segment_ptr 1
		.amdhsa_user_sgpr_dispatch_id 0
		.amdhsa_user_sgpr_kernarg_preload_length 0
		.amdhsa_user_sgpr_kernarg_preload_offset 0
		.amdhsa_user_sgpr_private_segment_size 0
		.amdhsa_wavefront_size32 1
		.amdhsa_uses_dynamic_stack 0
		.amdhsa_enable_private_segment 0
		.amdhsa_system_sgpr_workgroup_id_x 1
		.amdhsa_system_sgpr_workgroup_id_y 1
		.amdhsa_system_sgpr_workgroup_id_z 0
		.amdhsa_system_sgpr_workgroup_info 0
		.amdhsa_system_vgpr_workitem_id 0
		.amdhsa_next_free_vgpr 38
		.amdhsa_next_free_sgpr 35
		.amdhsa_named_barrier_count 0
		.amdhsa_reserve_vcc 1
		.amdhsa_float_round_mode_32 0
		.amdhsa_float_round_mode_16_64 0
		.amdhsa_float_denorm_mode_32 3
		.amdhsa_float_denorm_mode_16_64 3
		.amdhsa_fp16_overflow 0
		.amdhsa_memory_ordered 1
		.amdhsa_forward_progress 1
		.amdhsa_inst_pref_size 23
		.amdhsa_round_robin_scheduling 0
		.amdhsa_exception_fp_ieee_invalid_op 0
		.amdhsa_exception_fp_denorm_src 0
		.amdhsa_exception_fp_ieee_div_zero 0
		.amdhsa_exception_fp_ieee_overflow 0
		.amdhsa_exception_fp_ieee_underflow 0
		.amdhsa_exception_fp_ieee_inexact 0
		.amdhsa_exception_int_div_zero 0
	.end_amdhsa_kernel
	.section	.text._ZN9rocsolver6v33100L22larf_left_kernel_smallILi256E19rocblas_complex_numIfEiPS3_EEvT1_S5_T2_lS5_lPKT0_lS6_lS5_l,"axG",@progbits,_ZN9rocsolver6v33100L22larf_left_kernel_smallILi256E19rocblas_complex_numIfEiPS3_EEvT1_S5_T2_lS5_lPKT0_lS6_lS5_l,comdat
.Lfunc_end2:
	.size	_ZN9rocsolver6v33100L22larf_left_kernel_smallILi256E19rocblas_complex_numIfEiPS3_EEvT1_S5_T2_lS5_lPKT0_lS6_lS5_l, .Lfunc_end2-_ZN9rocsolver6v33100L22larf_left_kernel_smallILi256E19rocblas_complex_numIfEiPS3_EEvT1_S5_T2_lS5_lPKT0_lS6_lS5_l
                                        ; -- End function
	.set _ZN9rocsolver6v33100L22larf_left_kernel_smallILi256E19rocblas_complex_numIfEiPS3_EEvT1_S5_T2_lS5_lPKT0_lS6_lS5_l.num_vgpr, 38
	.set _ZN9rocsolver6v33100L22larf_left_kernel_smallILi256E19rocblas_complex_numIfEiPS3_EEvT1_S5_T2_lS5_lPKT0_lS6_lS5_l.num_agpr, 0
	.set _ZN9rocsolver6v33100L22larf_left_kernel_smallILi256E19rocblas_complex_numIfEiPS3_EEvT1_S5_T2_lS5_lPKT0_lS6_lS5_l.numbered_sgpr, 35
	.set _ZN9rocsolver6v33100L22larf_left_kernel_smallILi256E19rocblas_complex_numIfEiPS3_EEvT1_S5_T2_lS5_lPKT0_lS6_lS5_l.num_named_barrier, 0
	.set _ZN9rocsolver6v33100L22larf_left_kernel_smallILi256E19rocblas_complex_numIfEiPS3_EEvT1_S5_T2_lS5_lPKT0_lS6_lS5_l.private_seg_size, 0
	.set _ZN9rocsolver6v33100L22larf_left_kernel_smallILi256E19rocblas_complex_numIfEiPS3_EEvT1_S5_T2_lS5_lPKT0_lS6_lS5_l.uses_vcc, 1
	.set _ZN9rocsolver6v33100L22larf_left_kernel_smallILi256E19rocblas_complex_numIfEiPS3_EEvT1_S5_T2_lS5_lPKT0_lS6_lS5_l.uses_flat_scratch, 0
	.set _ZN9rocsolver6v33100L22larf_left_kernel_smallILi256E19rocblas_complex_numIfEiPS3_EEvT1_S5_T2_lS5_lPKT0_lS6_lS5_l.has_dyn_sized_stack, 0
	.set _ZN9rocsolver6v33100L22larf_left_kernel_smallILi256E19rocblas_complex_numIfEiPS3_EEvT1_S5_T2_lS5_lPKT0_lS6_lS5_l.has_recursion, 0
	.set _ZN9rocsolver6v33100L22larf_left_kernel_smallILi256E19rocblas_complex_numIfEiPS3_EEvT1_S5_T2_lS5_lPKT0_lS6_lS5_l.has_indirect_call, 0
	.section	.AMDGPU.csdata,"",@progbits
; Kernel info:
; codeLenInByte = 2848
; TotalNumSgprs: 37
; NumVgprs: 38
; ScratchSize: 0
; MemoryBound: 0
; FloatMode: 240
; IeeeMode: 1
; LDSByteSize: 18432 bytes/workgroup (compile time only)
; SGPRBlocks: 0
; VGPRBlocks: 2
; NumSGPRsForWavesPerEU: 37
; NumVGPRsForWavesPerEU: 38
; NamedBarCnt: 0
; Occupancy: 16
; WaveLimiterHint : 0
; COMPUTE_PGM_RSRC2:SCRATCH_EN: 0
; COMPUTE_PGM_RSRC2:USER_SGPR: 2
; COMPUTE_PGM_RSRC2:TRAP_HANDLER: 0
; COMPUTE_PGM_RSRC2:TGID_X_EN: 1
; COMPUTE_PGM_RSRC2:TGID_Y_EN: 1
; COMPUTE_PGM_RSRC2:TGID_Z_EN: 0
; COMPUTE_PGM_RSRC2:TIDIG_COMP_CNT: 0
	.section	.text._ZN9rocsolver6v33100L22larf_left_kernel_smallILi512E19rocblas_complex_numIfEiPS3_EEvT1_S5_T2_lS5_lPKT0_lS6_lS5_l,"axG",@progbits,_ZN9rocsolver6v33100L22larf_left_kernel_smallILi512E19rocblas_complex_numIfEiPS3_EEvT1_S5_T2_lS5_lPKT0_lS6_lS5_l,comdat
	.globl	_ZN9rocsolver6v33100L22larf_left_kernel_smallILi512E19rocblas_complex_numIfEiPS3_EEvT1_S5_T2_lS5_lPKT0_lS6_lS5_l ; -- Begin function _ZN9rocsolver6v33100L22larf_left_kernel_smallILi512E19rocblas_complex_numIfEiPS3_EEvT1_S5_T2_lS5_lPKT0_lS6_lS5_l
	.p2align	8
	.type	_ZN9rocsolver6v33100L22larf_left_kernel_smallILi512E19rocblas_complex_numIfEiPS3_EEvT1_S5_T2_lS5_lPKT0_lS6_lS5_l,@function
_ZN9rocsolver6v33100L22larf_left_kernel_smallILi512E19rocblas_complex_numIfEiPS3_EEvT1_S5_T2_lS5_lPKT0_lS6_lS5_l: ; @_ZN9rocsolver6v33100L22larf_left_kernel_smallILi512E19rocblas_complex_numIfEiPS3_EEvT1_S5_T2_lS5_lPKT0_lS6_lS5_l
; %bb.0:
	s_clause 0x2
	s_load_b64 s[12:13], s[0:1], 0x0
	s_load_b256 s[4:11], s[0:1], 0x20
	s_load_b64 s[16:17], s[0:1], 0x40
	s_bfe_u32 s2, ttmp6, 0x4000c
	s_and_b32 s14, ttmp6, 15
	s_add_co_i32 s2, s2, 1
	s_getreg_b32 s3, hwreg(HW_REG_IB_STS2, 6, 4)
	s_mul_i32 s2, ttmp9, s2
	v_lshlrev_b32_e32 v2, 3, v0
	s_add_co_i32 s14, s14, s2
	s_cmp_eq_u32 s3, 0
	s_mov_b32 s18, 0
	s_cselect_b32 s14, ttmp9, s14
	s_delay_alu instid0(SALU_CYCLE_1)
	s_ashr_i32 s15, s14, 31
	s_wait_kmcnt 0x0
	v_cmp_gt_i32_e64 s2, s12, v0
	s_and_saveexec_b32 s19, s2
	s_cbranch_execz .LBB3_3
; %bb.1:
	s_clause 0x1
	s_load_b128 s[20:23], s[0:1], 0x8
	s_load_b32 s24, s[0:1], 0x18
	s_mul_u64 s[4:5], s[4:5], s[14:15]
	s_sub_co_i32 s25, 1, s12
	s_lshl_b64 s[4:5], s[4:5], 3
	v_dual_mov_b32 v4, v0 :: v_dual_lshlrev_b32 v3, 3, v0
	s_wait_kmcnt 0x0
	s_lshl_b64 s[22:23], s[22:23], 3
	s_mul_i32 s25, s24, s25
	s_cmp_lt_i32 s24, 1
	s_add_nc_u64 s[4:5], s[20:21], s[4:5]
	s_cselect_b32 s25, s25, 0
	s_add_nc_u64 s[4:5], s[4:5], s[22:23]
	v_mad_u32 v1, v0, s24, s25
	s_lshl_b32 s20, s24, 9
.LBB3_2:                                ; =>This Inner Loop Header: Depth=1
	global_load_b64 v[6:7], v1, s[4:5] scale_offset
	v_add_nc_u32_e32 v4, 0x200, v4
	s_wait_xcnt 0x0
	v_add_nc_u32_e32 v1, s20, v1
	s_delay_alu instid0(VALU_DEP_2)
	v_cmp_le_i32_e32 vcc_lo, s12, v4
	s_or_b32 s18, vcc_lo, s18
	s_wait_loadcnt 0x0
	ds_store_b64 v3, v[6:7]
	v_add_nc_u32_e32 v3, 0x1000, v3
	s_and_not1_b32 exec_lo, exec_lo, s18
	s_cbranch_execnz .LBB3_2
.LBB3_3:
	s_or_b32 exec_lo, exec_lo, s19
	s_bfe_u32 s4, ttmp6, 0x40010
	s_bfe_u32 s5, ttmp6, 0x40004
	s_add_co_i32 s4, s4, 1
	s_wait_dscnt 0x0
	s_mul_i32 s4, ttmp7, s4
	s_barrier_signal -1
	s_add_co_i32 s5, s5, s4
	s_cmp_eq_u32 s3, 0
	s_barrier_wait -1
	s_cselect_b32 s20, ttmp7, s5
	s_delay_alu instid0(SALU_CYCLE_1)
	s_cmp_ge_i32 s20, s13
	s_cbranch_scc1 .LBB3_37
; %bb.4:
	v_xad_u32 v3, v0, -1, s12
	s_clause 0x1
	s_load_b64 s[18:19], s[0:1], 0x50
	s_load_b32 s21, s[0:1], 0x48
	s_mul_u64 s[4:5], s[8:9], s[14:15]
	s_lshl_b64 s[16:17], s[16:17], 3
	v_dual_lshrrev_b32 v1, 9, v3 :: v_dual_bitop2_b32 v4, 31, v0 bitop3:0x40
	v_lshrrev_b32_e32 v6, 2, v0
	s_lshl_b64 s[4:5], s[4:5], 3
	v_cmp_lt_u32_e64 s3, 0x1ff, v3
	s_delay_alu instid0(VALU_DEP_3)
	v_add_nc_u32_e32 v5, -1, v1
	s_wait_xcnt 0x0
	v_cmp_eq_u32_e64 s1, 0, v4
	s_add_nc_u64 s[8:9], s[6:7], s[4:5]
	v_mbcnt_lo_u32_b32 v17, -1, 0
	v_cmp_eq_u32_e64 s0, 0, v0
	v_lshrrev_b32_e32 v4, 1, v5
	v_add_nc_u32_e32 v7, 1, v1
	v_cmp_lt_u32_e64 s4, 5, v5
	v_or_b32_e32 v1, 0x200, v0
	v_lshl_or_b32 v18, v17, 2, 64
	v_add_nc_u32_e32 v3, 1, v4
	v_and_b32_e32 v8, 0xfffffe, v7
	s_wait_kmcnt 0x0
	s_mul_u64 s[6:7], s[18:19], s[14:15]
	v_or_b32_e32 v19, 0x4000, v6
	s_lshl_b64 s[6:7], s[6:7], 3
	v_and_b32_e32 v15, 3, v3
	v_dual_mov_b32 v3, 0 :: v_dual_bitop2_b32 v16, -4, v3 bitop3:0x40
	s_add_nc_u64 s[14:15], s[10:11], s[6:7]
	s_add_nc_u64 s[6:7], s[6:7], s[16:17]
	v_lshl_or_b32 v14, v8, 9, v0
	s_add_nc_u64 s[10:11], s[10:11], s[6:7]
	v_cmp_ne_u32_e64 s5, 0, v15
	v_add_nc_u64_e32 v[4:5], s[10:11], v[2:3]
	v_cmp_ne_u32_e64 s6, v7, v8
	v_dual_mov_b32 v20, 0x4008 :: v_dual_lshlrev_b32 v27, 3, v14
	v_mov_b32_e32 v21, 0x4018
	v_mov_b32_e32 v22, 0x4028
	;; [unrolled: 1-line block ×6, first 2 shown]
	s_cmp_gt_i32 s12, 1
	s_add_nc_u64 s[14:15], s[14:15], s[16:17]
	s_cselect_b32 s7, -1, 0
	s_mul_i32 s16, s20, s21
	s_lshl_b32 s22, s21, 6
	s_branch .LBB3_6
.LBB3_5:                                ;   in Loop: Header=BB3_6 Depth=1
	s_or_b32 exec_lo, exec_lo, s17
	s_add_co_i32 s20, s20, 64
	s_add_co_i32 s16, s16, s22
	s_cmp_ge_i32 s20, s13
	s_cbranch_scc1 .LBB3_37
.LBB3_6:                                ; =>This Loop Header: Depth=1
                                        ;     Child Loop BB3_8 Depth 2
                                        ;     Child Loop BB3_26 Depth 2
	;; [unrolled: 1-line block ×4, first 2 shown]
	v_mov_b64_e32 v[6:7], 0
	s_ashr_i32 s17, s16, 31
	s_delay_alu instid0(SALU_CYCLE_1)
	s_lshl_b64 s[18:19], s[16:17], 3
	s_and_saveexec_b32 s17, s2
	s_cbranch_execz .LBB3_10
; %bb.7:                                ;   in Loop: Header=BB3_6 Depth=1
	v_dual_mov_b32 v6, 0 :: v_dual_mov_b32 v10, v2
	v_add_nc_u64_e32 v[8:9], s[18:19], v[4:5]
	v_mov_b32_e32 v11, v0
	s_mov_b32 s23, 0
	s_delay_alu instid0(VALU_DEP_3)
	v_mov_b32_e32 v7, v6
.LBB3_8:                                ;   Parent Loop BB3_6 Depth=1
                                        ; =>  This Inner Loop Header: Depth=2
	global_load_b64 v[12:13], v[8:9], off
	ds_load_b64 v[28:29], v10
	s_wait_xcnt 0x0
	v_add_nc_u64_e32 v[8:9], 0x1000, v[8:9]
	v_add_nc_u32_e32 v11, 0x200, v11
	v_add_nc_u32_e32 v10, 0x1000, v10
	s_delay_alu instid0(VALU_DEP_2)
	v_cmp_le_i32_e32 vcc_lo, s12, v11
	s_or_b32 s23, vcc_lo, s23
	s_wait_dscnt 0x0
	v_mov_b32_e32 v32, v29
	s_wait_loadcnt 0x0
	v_pk_mul_f32 v[30:31], v[12:13], v[28:29] op_sel_hi:[1,0]
	s_delay_alu instid0(VALU_DEP_1) | instskip(NEXT) | instid1(VALU_DEP_3)
	v_pk_fma_f32 v[28:29], v[12:13], v[28:29], v[30:31] op_sel:[1,1,0] op_sel_hi:[0,1,1] neg_lo:[0,0,1] neg_hi:[0,0,1]
	v_pk_fma_f32 v[12:13], v[12:13], v[32:33], v[30:31] op_sel:[1,0,0] op_sel_hi:[0,1,1]
	s_delay_alu instid0(VALU_DEP_2) | instskip(NEXT) | instid1(VALU_DEP_1)
	v_mov_b32_e32 v13, v29
	v_pk_add_f32 v[6:7], v[6:7], v[12:13]
	s_and_not1_b32 exec_lo, exec_lo, s23
	s_cbranch_execnz .LBB3_8
; %bb.9:                                ;   in Loop: Header=BB3_6 Depth=1
	s_or_b32 exec_lo, exec_lo, s23
.LBB3_10:                               ;   in Loop: Header=BB3_6 Depth=1
	s_delay_alu instid0(SALU_CYCLE_1) | instskip(NEXT) | instid1(SALU_CYCLE_1)
	s_or_b32 exec_lo, exec_lo, s17
	s_and_b32 vcc_lo, exec_lo, s7
	s_cbranch_vccz .LBB3_17
; %bb.11:                               ;   in Loop: Header=BB3_6 Depth=1
	v_cmp_ne_u32_e32 vcc_lo, 31, v17
	v_add_co_ci_u32_e64 v8, null, 0, v17, vcc_lo
	v_cmp_gt_u32_e32 vcc_lo, 30, v17
	s_delay_alu instid0(VALU_DEP_2)
	v_lshlrev_b32_e32 v9, 2, v8
	v_cndmask_b32_e64 v10, 0, 2, vcc_lo
	v_cmp_gt_u32_e32 vcc_lo, 28, v17
	ds_bpermute_b32 v8, v9, v6
	ds_bpermute_b32 v9, v9, v7
	v_add_lshl_u32 v11, v10, v17, 2
	v_cndmask_b32_e64 v12, 0, 4, vcc_lo
	v_cmp_gt_u32_e32 vcc_lo, 24, v17
	s_delay_alu instid0(VALU_DEP_2)
	v_add_lshl_u32 v12, v12, v17, 2
	s_wait_dscnt 0x0
	v_pk_add_f32 v[8:9], v[6:7], v[8:9]
	ds_bpermute_b32 v10, v11, v8
	ds_bpermute_b32 v11, v11, v9
	s_wait_dscnt 0x0
	v_pk_add_f32 v[8:9], v[8:9], v[10:11]
	ds_bpermute_b32 v10, v12, v8
	ds_bpermute_b32 v11, v12, v9
	v_cndmask_b32_e64 v12, 0, 8, vcc_lo
	s_delay_alu instid0(VALU_DEP_1)
	v_add_lshl_u32 v12, v12, v17, 2
	s_wait_dscnt 0x0
	v_pk_add_f32 v[8:9], v[8:9], v[10:11]
	ds_bpermute_b32 v10, v12, v8
	ds_bpermute_b32 v11, v12, v9
	s_wait_dscnt 0x0
	v_pk_add_f32 v[8:9], v[8:9], v[10:11]
	ds_bpermute_b32 v10, v18, v8
	ds_bpermute_b32 v11, v18, v9
	s_wait_dscnt 0x0
	v_pk_add_f32 v[8:9], v[8:9], v[10:11]
	s_and_saveexec_b32 s17, s1
; %bb.12:                               ;   in Loop: Header=BB3_6 Depth=1
	ds_store_2addr_b32 v19, v8, v9 offset1:1
; %bb.13:                               ;   in Loop: Header=BB3_6 Depth=1
	s_or_b32 exec_lo, exec_lo, s17
	s_mov_b32 s23, 0
	s_mov_b32 s17, 0
	s_wait_dscnt 0x0
	s_barrier_signal -1
	s_barrier_wait -1
                                        ; implicit-def: $vgpr10_vgpr11
	s_and_saveexec_b32 s24, s0
	s_delay_alu instid0(SALU_CYCLE_1)
	s_xor_b32 s24, exec_lo, s24
	s_cbranch_execz .LBB3_15
; %bb.14:                               ;   in Loop: Header=BB3_6 Depth=1
	ds_load_2addr_b64 v[10:13], v20 offset1:1
	ds_load_2addr_b64 v[28:31], v21 offset1:1
	ds_load_2addr_b64 v[32:35], v22 offset1:1
	s_mov_b32 s17, exec_lo
	s_wait_dscnt 0x2
	v_pk_add_f32 v[8:9], v[8:9], v[10:11]
	s_delay_alu instid0(VALU_DEP_1) | instskip(SKIP_3) | instid1(VALU_DEP_1)
	v_pk_add_f32 v[12:13], v[8:9], v[12:13]
	ds_load_2addr_b64 v[8:11], v23 offset1:1
	s_wait_dscnt 0x2
	v_pk_add_f32 v[12:13], v[12:13], v[28:29]
	v_pk_add_f32 v[12:13], v[12:13], v[30:31]
	ds_load_2addr_b64 v[28:31], v24 offset1:1
	s_wait_dscnt 0x2
	v_pk_add_f32 v[12:13], v[12:13], v[32:33]
	s_delay_alu instid0(VALU_DEP_1) | instskip(SKIP_3) | instid1(VALU_DEP_1)
	v_pk_add_f32 v[12:13], v[12:13], v[34:35]
	ds_load_2addr_b64 v[32:35], v25 offset1:1
	s_wait_dscnt 0x2
	v_pk_add_f32 v[8:9], v[12:13], v[8:9]
	v_pk_add_f32 v[8:9], v[8:9], v[10:11]
	s_wait_dscnt 0x1
	s_delay_alu instid0(VALU_DEP_1) | instskip(SKIP_4) | instid1(VALU_DEP_1)
	v_pk_add_f32 v[12:13], v[8:9], v[28:29]
	ds_load_2addr_b64 v[8:11], v26 offset1:1
	ds_load_b64 v[28:29], v3 offset:16504
	v_pk_add_f32 v[12:13], v[12:13], v[30:31]
	s_wait_dscnt 0x2
	v_pk_add_f32 v[12:13], v[12:13], v[32:33]
	s_delay_alu instid0(VALU_DEP_1) | instskip(SKIP_1) | instid1(VALU_DEP_1)
	v_pk_add_f32 v[12:13], v[12:13], v[34:35]
	s_wait_dscnt 0x1
	v_pk_add_f32 v[8:9], v[12:13], v[8:9]
	s_delay_alu instid0(VALU_DEP_1) | instskip(SKIP_1) | instid1(VALU_DEP_1)
	v_pk_add_f32 v[8:9], v[8:9], v[10:11]
	s_wait_dscnt 0x0
	v_pk_add_f32 v[10:11], v[8:9], v[28:29]
.LBB3_15:                               ;   in Loop: Header=BB3_6 Depth=1
	s_or_b32 exec_lo, exec_lo, s24
	s_delay_alu instid0(SALU_CYCLE_1)
	s_and_b32 vcc_lo, exec_lo, s23
	s_cbranch_vccnz .LBB3_18
.LBB3_16:                               ;   in Loop: Header=BB3_6 Depth=1
	s_delay_alu instid0(VALU_DEP_1)
	v_mov_b64_e32 v[6:7], v[10:11]
	s_and_saveexec_b32 s23, s17
	s_cbranch_execnz .LBB3_19
	s_branch .LBB3_20
.LBB3_17:                               ;   in Loop: Header=BB3_6 Depth=1
	s_mov_b32 s17, 0
                                        ; implicit-def: $vgpr10_vgpr11
	s_cbranch_execz .LBB3_16
.LBB3_18:                               ;   in Loop: Header=BB3_6 Depth=1
	s_and_not1_b32 s17, s17, exec_lo
	s_and_b32 s23, s0, exec_lo
	s_delay_alu instid0(SALU_CYCLE_1) | instskip(NEXT) | instid1(SALU_CYCLE_1)
	s_or_b32 s17, s17, s23
	s_and_saveexec_b32 s23, s17
.LBB3_19:                               ;   in Loop: Header=BB3_6 Depth=1
	ds_store_b64 v3, v[6:7] offset:16384
.LBB3_20:                               ;   in Loop: Header=BB3_6 Depth=1
	s_or_b32 exec_lo, exec_lo, s23
	s_wait_dscnt 0x0
	s_barrier_signal -1
	s_barrier_wait -1
	s_and_saveexec_b32 s17, s2
	s_cbranch_execz .LBB3_5
; %bb.21:                               ;   in Loop: Header=BB3_6 Depth=1
	global_load_b64 v[10:11], v3, s[8:9]
	ds_load_b64 v[12:13], v3 offset:16384
	s_mov_b32 s24, 0
                                        ; implicit-def: $vgpr28
	s_wait_loadcnt_dscnt 0x0
	v_dual_mul_f32 v6, v11, v13 :: v_dual_mul_f32 v7, v11, v12
	v_xor_b32_e32 v9, 0x80000000, v10
	s_delay_alu instid0(VALU_DEP_2) | instskip(NEXT) | instid1(VALU_DEP_3)
	v_xor_b32_e32 v6, 0x80000000, v6
	v_xor_b32_e32 v8, 0x80000000, v7
	s_delay_alu instid0(VALU_DEP_2) | instskip(NEXT) | instid1(VALU_DEP_2)
	v_fmac_f32_e32 v6, v12, v9
	v_fmac_f32_e32 v8, v10, v13
	s_wait_xcnt 0x0
	s_and_saveexec_b32 s23, s3
	s_delay_alu instid0(SALU_CYCLE_1)
	s_xor_b32 s23, exec_lo, s23
	s_cbranch_execnz .LBB3_24
; %bb.22:                               ;   in Loop: Header=BB3_6 Depth=1
	s_or_saveexec_b32 s23, s23
	v_mov_b32_e32 v10, v14
	s_xor_b32 exec_lo, exec_lo, s23
	s_cbranch_execnz .LBB3_34
.LBB3_23:                               ;   in Loop: Header=BB3_6 Depth=1
	s_or_b32 exec_lo, exec_lo, s23
	s_delay_alu instid0(SALU_CYCLE_1)
	s_and_b32 exec_lo, exec_lo, s24
	s_cbranch_execz .LBB3_5
	s_branch .LBB3_35
.LBB3_24:                               ;   in Loop: Header=BB3_6 Depth=1
	v_mov_b64_e32 v[10:11], v[0:1]
	v_dual_mov_b32 v7, v6 :: v_dual_mov_b32 v9, v8
	v_mov_b32_e32 v28, 0
	s_mul_i32 s24, s20, s21
	s_and_saveexec_b32 s25, s4
	s_cbranch_execz .LBB3_28
; %bb.25:                               ;   in Loop: Header=BB3_6 Depth=1
	v_mov_b64_e32 v[10:11], v[0:1]
	v_dual_mov_b32 v12, v16 :: v_dual_mov_b32 v13, v2
	s_add_co_i32 s26, s24, 0x400
	s_add_co_i32 s27, s24, 0x800
	s_add_co_i32 s30, s24, 0xc00
	s_mov_b32 s28, s26
	s_mov_b32 s29, s27
	;; [unrolled: 1-line block ×5, first 2 shown]
.LBB3_26:                               ;   Parent Loop BB3_6 Depth=1
                                        ; =>  This Inner Loop Header: Depth=2
	v_dual_add_nc_u32 v38, s24, v10 :: v_dual_add_nc_u32 v39, s24, v11
	v_dual_add_nc_u32 v40, s28, v11 :: v_dual_add_nc_u32 v41, s26, v10
	s_add_co_i32 s34, s34, 8
	s_clause 0x1
	global_load_b64 v[32:33], v38, s[14:15] scale_offset
	global_load_b64 v[34:35], v39, s[14:15] scale_offset
	ds_load_2addr_stride64_b64 v[28:31], v13 offset1:8
	s_wait_dscnt 0x0
	v_dual_mov_b32 v37, v30 :: v_dual_mov_b32 v30, v29
	v_mov_b32_e32 v36, v28
	s_delay_alu instid0(VALU_DEP_2) | instskip(SKIP_1) | instid1(VALU_DEP_2)
	v_pk_mul_f32 v[28:29], v[8:9], v[30:31]
	v_pk_mul_f32 v[30:31], v[6:7], v[30:31]
	v_pk_fma_f32 v[28:29], v[6:7], v[36:37], v[28:29] neg_lo:[0,0,1] neg_hi:[0,0,1]
	s_delay_alu instid0(VALU_DEP_2) | instskip(SKIP_3) | instid1(VALU_DEP_2)
	v_pk_fma_f32 v[30:31], v[8:9], v[36:37], v[30:31]
	s_wait_loadcnt 0x0
	v_dual_mov_b32 v36, v32 :: v_dual_mov_b32 v37, v34
	v_mov_b32_e32 v34, v33
	v_pk_add_f32 v[28:29], v[36:37], v[28:29]
	s_delay_alu instid0(VALU_DEP_2) | instskip(NEXT) | instid1(VALU_DEP_1)
	v_pk_add_f32 v[30:31], v[30:31], v[34:35]
	v_dual_mov_b32 v32, v28 :: v_dual_mov_b32 v33, v30
	s_delay_alu instid0(VALU_DEP_3)
	v_mov_b32_e32 v30, v29
	s_clause 0x3
	global_store_b64 v38, v[32:33], s[14:15] scale_offset
	global_store_b64 v39, v[30:31], s[14:15] scale_offset
	global_load_b64 v[32:33], v41, s[14:15] scale_offset
	global_load_b64 v[34:35], v40, s[14:15] scale_offset
	s_wait_xcnt 0x2
	ds_load_2addr_stride64_b64 v[28:31], v13 offset0:16 offset1:24
	v_dual_add_nc_u32 v39, s27, v10 :: v_dual_add_nc_u32 v38, s29, v11
	s_wait_dscnt 0x0
	v_dual_mov_b32 v37, v30 :: v_dual_mov_b32 v30, v29
	v_mov_b32_e32 v36, v28
	s_delay_alu instid0(VALU_DEP_2) | instskip(SKIP_1) | instid1(VALU_DEP_2)
	v_pk_mul_f32 v[28:29], v[8:9], v[30:31]
	v_pk_mul_f32 v[30:31], v[6:7], v[30:31]
	v_pk_fma_f32 v[28:29], v[6:7], v[36:37], v[28:29] neg_lo:[0,0,1] neg_hi:[0,0,1]
	s_delay_alu instid0(VALU_DEP_2) | instskip(SKIP_2) | instid1(VALU_DEP_1)
	v_pk_fma_f32 v[30:31], v[8:9], v[36:37], v[30:31]
	s_wait_loadcnt 0x0
	v_dual_mov_b32 v36, v32 :: v_dual_mov_b32 v37, v34
	v_pk_add_f32 v[28:29], v[36:37], v[28:29]
	s_delay_alu instid0(VALU_DEP_1) | instskip(NEXT) | instid1(VALU_DEP_1)
	v_dual_mov_b32 v34, v33 :: v_dual_mov_b32 v32, v28
	v_pk_add_f32 v[30:31], v[30:31], v[34:35]
	s_delay_alu instid0(VALU_DEP_1)
	v_dual_mov_b32 v33, v30 :: v_dual_mov_b32 v30, v29
	s_clause 0x3
	global_store_b64 v41, v[32:33], s[14:15] scale_offset
	global_store_b64 v40, v[30:31], s[14:15] scale_offset
	global_load_b64 v[32:33], v39, s[14:15] scale_offset
	global_load_b64 v[34:35], v38, s[14:15] scale_offset
	s_wait_xcnt 0x2
	ds_load_2addr_stride64_b64 v[28:31], v13 offset0:32 offset1:40
	v_dual_add_nc_u32 v40, s33, v11 :: v_dual_add_nc_u32 v41, s30, v10
	v_add_nc_u32_e32 v11, 0x1000, v11
	s_wait_dscnt 0x0
	v_dual_mov_b32 v37, v30 :: v_dual_mov_b32 v30, v29
	v_mov_b32_e32 v36, v28
	s_delay_alu instid0(VALU_DEP_2) | instskip(SKIP_1) | instid1(VALU_DEP_2)
	v_pk_mul_f32 v[28:29], v[8:9], v[30:31]
	v_pk_mul_f32 v[30:31], v[6:7], v[30:31]
	v_pk_fma_f32 v[28:29], v[6:7], v[36:37], v[28:29] neg_lo:[0,0,1] neg_hi:[0,0,1]
	s_delay_alu instid0(VALU_DEP_2) | instskip(SKIP_3) | instid1(VALU_DEP_2)
	v_pk_fma_f32 v[30:31], v[8:9], v[36:37], v[30:31]
	s_wait_loadcnt 0x0
	v_dual_mov_b32 v36, v32 :: v_dual_mov_b32 v37, v34
	v_mov_b32_e32 v34, v33
	v_pk_add_f32 v[28:29], v[36:37], v[28:29]
	s_delay_alu instid0(VALU_DEP_2) | instskip(NEXT) | instid1(VALU_DEP_1)
	v_pk_add_f32 v[30:31], v[30:31], v[34:35]
	v_dual_mov_b32 v32, v28 :: v_dual_mov_b32 v33, v30
	s_delay_alu instid0(VALU_DEP_3)
	v_mov_b32_e32 v30, v29
	s_clause 0x3
	global_store_b64 v39, v[32:33], s[14:15] scale_offset
	global_store_b64 v38, v[30:31], s[14:15] scale_offset
	global_load_b64 v[32:33], v41, s[14:15] scale_offset
	global_load_b64 v[34:35], v40, s[14:15] scale_offset
	s_wait_xcnt 0x2
	ds_load_2addr_stride64_b64 v[28:31], v13 offset0:48 offset1:56
	s_wait_dscnt 0x0
	v_dual_mov_b32 v37, v30 :: v_dual_mov_b32 v30, v29
	v_mov_b32_e32 v36, v28
	s_delay_alu instid0(VALU_DEP_2) | instskip(SKIP_1) | instid1(VALU_DEP_2)
	v_pk_mul_f32 v[28:29], v[8:9], v[30:31]
	v_pk_mul_f32 v[30:31], v[6:7], v[30:31]
	v_pk_fma_f32 v[28:29], v[6:7], v[36:37], v[28:29] neg_lo:[0,0,1] neg_hi:[0,0,1]
	s_delay_alu instid0(VALU_DEP_2) | instskip(SKIP_3) | instid1(VALU_DEP_2)
	v_pk_fma_f32 v[30:31], v[8:9], v[36:37], v[30:31]
	s_wait_loadcnt 0x0
	v_dual_mov_b32 v36, v32 :: v_dual_mov_b32 v37, v34
	v_mov_b32_e32 v34, v33
	v_pk_add_f32 v[28:29], v[36:37], v[28:29]
	v_add_nc_u32_e32 v12, -4, v12
	s_delay_alu instid0(VALU_DEP_3) | instskip(SKIP_1) | instid1(VALU_DEP_4)
	v_pk_add_f32 v[30:31], v[30:31], v[34:35]
	v_add_nc_u32_e32 v10, 0x1000, v10
	v_dual_mov_b32 v32, v28 :: v_dual_add_nc_u32 v13, 0x8000, v13
	s_delay_alu instid0(VALU_DEP_4) | instskip(NEXT) | instid1(VALU_DEP_4)
	v_cmp_eq_u32_e32 vcc_lo, 0, v12
	v_dual_mov_b32 v33, v30 :: v_dual_mov_b32 v28, s34
	v_mov_b32_e32 v30, v29
	s_clause 0x1
	global_store_b64 v41, v[32:33], s[14:15] scale_offset
	global_store_b64 v40, v[30:31], s[14:15] scale_offset
	s_or_b32 s31, vcc_lo, s31
	s_wait_xcnt 0x0
	s_and_not1_b32 exec_lo, exec_lo, s31
	s_cbranch_execnz .LBB3_26
; %bb.27:                               ;   in Loop: Header=BB3_6 Depth=1
	s_or_b32 exec_lo, exec_lo, s31
.LBB3_28:                               ;   in Loop: Header=BB3_6 Depth=1
	s_delay_alu instid0(SALU_CYCLE_1)
	s_or_b32 exec_lo, exec_lo, s25
	s_and_saveexec_b32 s25, s5
	s_cbranch_execz .LBB3_31
; %bb.29:                               ;   in Loop: Header=BB3_6 Depth=1
	v_lshl_or_b32 v12, v28, 12, v2
	v_mov_b32_e32 v13, v15
	s_mov_b32 s26, 0
.LBB3_30:                               ;   Parent Loop BB3_6 Depth=1
                                        ; =>  This Inner Loop Header: Depth=2
	v_dual_add_nc_u32 v38, s24, v10 :: v_dual_add_nc_u32 v39, s24, v11
	v_add_nc_u32_e32 v10, 0x400, v10
	s_clause 0x1
	global_load_b64 v[32:33], v38, s[14:15] scale_offset
	global_load_b64 v[34:35], v39, s[14:15] scale_offset
	ds_load_2addr_stride64_b64 v[28:31], v12 offset1:8
	s_wait_dscnt 0x0
	v_dual_mov_b32 v37, v30 :: v_dual_add_nc_u32 v12, 0x2000, v12
	v_dual_mov_b32 v30, v29 :: v_dual_mov_b32 v36, v28
	s_delay_alu instid0(VALU_DEP_1) | instskip(SKIP_1) | instid1(VALU_DEP_2)
	v_pk_mul_f32 v[28:29], v[8:9], v[30:31]
	v_pk_mul_f32 v[30:31], v[6:7], v[30:31]
	v_pk_fma_f32 v[28:29], v[6:7], v[36:37], v[28:29] neg_lo:[0,0,1] neg_hi:[0,0,1]
	s_delay_alu instid0(VALU_DEP_2) | instskip(SKIP_3) | instid1(VALU_DEP_2)
	v_pk_fma_f32 v[30:31], v[8:9], v[36:37], v[30:31]
	s_wait_loadcnt 0x0
	v_dual_mov_b32 v36, v32 :: v_dual_mov_b32 v37, v34
	v_mov_b32_e32 v34, v33
	v_pk_add_f32 v[28:29], v[36:37], v[28:29]
	s_delay_alu instid0(VALU_DEP_2) | instskip(SKIP_1) | instid1(VALU_DEP_3)
	v_pk_add_f32 v[30:31], v[30:31], v[34:35]
	v_add_nc_u32_e32 v13, -1, v13
	v_dual_mov_b32 v32, v28 :: v_dual_add_nc_u32 v11, 0x400, v11
	s_delay_alu instid0(VALU_DEP_3) | instskip(NEXT) | instid1(VALU_DEP_3)
	v_mov_b32_e32 v33, v30
	v_cmp_eq_u32_e32 vcc_lo, 0, v13
	v_mov_b32_e32 v30, v29
	s_clause 0x1
	global_store_b64 v38, v[32:33], s[14:15] scale_offset
	global_store_b64 v39, v[30:31], s[14:15] scale_offset
	s_or_b32 s26, vcc_lo, s26
	s_wait_xcnt 0x0
	s_and_not1_b32 exec_lo, exec_lo, s26
	s_cbranch_execnz .LBB3_30
.LBB3_31:                               ;   in Loop: Header=BB3_6 Depth=1
	s_or_b32 exec_lo, exec_lo, s25
	s_mov_b32 s24, 0
	s_and_saveexec_b32 s25, s6
	s_delay_alu instid0(SALU_CYCLE_1)
	s_xor_b32 s25, exec_lo, s25
; %bb.32:                               ;   in Loop: Header=BB3_6 Depth=1
	s_mov_b32 s24, exec_lo
; %bb.33:                               ;   in Loop: Header=BB3_6 Depth=1
	s_or_b32 exec_lo, exec_lo, s25
	v_mov_b32_e32 v28, v27
	s_and_b32 s24, s24, exec_lo
	s_or_saveexec_b32 s23, s23
	v_mov_b32_e32 v10, v14
	s_xor_b32 exec_lo, exec_lo, s23
	s_cbranch_execz .LBB3_23
.LBB3_34:                               ;   in Loop: Header=BB3_6 Depth=1
	v_dual_mov_b32 v10, v0 :: v_dual_mov_b32 v28, v2
	s_or_b32 s24, s24, exec_lo
	s_or_b32 exec_lo, exec_lo, s23
	s_delay_alu instid0(SALU_CYCLE_1)
	s_and_b32 exec_lo, exec_lo, s24
	s_cbranch_execz .LBB3_5
.LBB3_35:                               ;   in Loop: Header=BB3_6 Depth=1
	v_dual_ashrrev_i32 v11, 31, v10 :: v_dual_mov_b32 v9, v8
	s_add_nc_u64 s[18:19], s[10:11], s[18:19]
	v_mov_b32_e32 v7, v6
	s_delay_alu instid0(VALU_DEP_2)
	v_lshl_add_u64 v[12:13], v[10:11], 3, s[18:19]
	s_mov_b32 s18, 0
.LBB3_36:                               ;   Parent Loop BB3_6 Depth=1
                                        ; =>  This Inner Loop Header: Depth=2
	global_load_b64 v[30:31], v[12:13], off
	ds_load_b64 v[32:33], v28
	v_add_nc_u32_e32 v28, 0x1000, v28
	v_add_nc_u32_e32 v10, 0x200, v10
	s_delay_alu instid0(VALU_DEP_1) | instskip(SKIP_3) | instid1(VALU_DEP_1)
	v_cmp_le_i32_e32 vcc_lo, s12, v10
	s_or_b32 s18, vcc_lo, s18
	s_wait_dscnt 0x0
	v_pk_mul_f32 v[34:35], v[8:9], v[32:33] op_sel:[0,1] op_sel_hi:[1,0]
	v_pk_fma_f32 v[36:37], v[6:7], v[32:33], v[34:35]
	v_pk_fma_f32 v[32:33], v[6:7], v[32:33], v[34:35] neg_lo:[0,0,1] neg_hi:[0,0,1]
	s_delay_alu instid0(VALU_DEP_2) | instskip(SKIP_1) | instid1(VALU_DEP_1)
	v_mov_b32_e32 v33, v37
	s_wait_loadcnt 0x0
	v_pk_add_f32 v[30:31], v[30:31], v[32:33]
	global_store_b64 v[12:13], v[30:31], off
	s_wait_xcnt 0x0
	v_add_nc_u64_e32 v[12:13], 0x1000, v[12:13]
	s_and_not1_b32 exec_lo, exec_lo, s18
	s_cbranch_execnz .LBB3_36
	s_branch .LBB3_5
.LBB3_37:
	s_endpgm
	.section	.rodata,"a",@progbits
	.p2align	6, 0x0
	.amdhsa_kernel _ZN9rocsolver6v33100L22larf_left_kernel_smallILi512E19rocblas_complex_numIfEiPS3_EEvT1_S5_T2_lS5_lPKT0_lS6_lS5_l
		.amdhsa_group_segment_fixed_size 20480
		.amdhsa_private_segment_fixed_size 0
		.amdhsa_kernarg_size 88
		.amdhsa_user_sgpr_count 2
		.amdhsa_user_sgpr_dispatch_ptr 0
		.amdhsa_user_sgpr_queue_ptr 0
		.amdhsa_user_sgpr_kernarg_segment_ptr 1
		.amdhsa_user_sgpr_dispatch_id 0
		.amdhsa_user_sgpr_kernarg_preload_length 0
		.amdhsa_user_sgpr_kernarg_preload_offset 0
		.amdhsa_user_sgpr_private_segment_size 0
		.amdhsa_wavefront_size32 1
		.amdhsa_uses_dynamic_stack 0
		.amdhsa_enable_private_segment 0
		.amdhsa_system_sgpr_workgroup_id_x 1
		.amdhsa_system_sgpr_workgroup_id_y 1
		.amdhsa_system_sgpr_workgroup_id_z 0
		.amdhsa_system_sgpr_workgroup_info 0
		.amdhsa_system_vgpr_workitem_id 0
		.amdhsa_next_free_vgpr 42
		.amdhsa_next_free_sgpr 35
		.amdhsa_named_barrier_count 0
		.amdhsa_reserve_vcc 1
		.amdhsa_float_round_mode_32 0
		.amdhsa_float_round_mode_16_64 0
		.amdhsa_float_denorm_mode_32 3
		.amdhsa_float_denorm_mode_16_64 3
		.amdhsa_fp16_overflow 0
		.amdhsa_memory_ordered 1
		.amdhsa_forward_progress 1
		.amdhsa_inst_pref_size 24
		.amdhsa_round_robin_scheduling 0
		.amdhsa_exception_fp_ieee_invalid_op 0
		.amdhsa_exception_fp_denorm_src 0
		.amdhsa_exception_fp_ieee_div_zero 0
		.amdhsa_exception_fp_ieee_overflow 0
		.amdhsa_exception_fp_ieee_underflow 0
		.amdhsa_exception_fp_ieee_inexact 0
		.amdhsa_exception_int_div_zero 0
	.end_amdhsa_kernel
	.section	.text._ZN9rocsolver6v33100L22larf_left_kernel_smallILi512E19rocblas_complex_numIfEiPS3_EEvT1_S5_T2_lS5_lPKT0_lS6_lS5_l,"axG",@progbits,_ZN9rocsolver6v33100L22larf_left_kernel_smallILi512E19rocblas_complex_numIfEiPS3_EEvT1_S5_T2_lS5_lPKT0_lS6_lS5_l,comdat
.Lfunc_end3:
	.size	_ZN9rocsolver6v33100L22larf_left_kernel_smallILi512E19rocblas_complex_numIfEiPS3_EEvT1_S5_T2_lS5_lPKT0_lS6_lS5_l, .Lfunc_end3-_ZN9rocsolver6v33100L22larf_left_kernel_smallILi512E19rocblas_complex_numIfEiPS3_EEvT1_S5_T2_lS5_lPKT0_lS6_lS5_l
                                        ; -- End function
	.set _ZN9rocsolver6v33100L22larf_left_kernel_smallILi512E19rocblas_complex_numIfEiPS3_EEvT1_S5_T2_lS5_lPKT0_lS6_lS5_l.num_vgpr, 42
	.set _ZN9rocsolver6v33100L22larf_left_kernel_smallILi512E19rocblas_complex_numIfEiPS3_EEvT1_S5_T2_lS5_lPKT0_lS6_lS5_l.num_agpr, 0
	.set _ZN9rocsolver6v33100L22larf_left_kernel_smallILi512E19rocblas_complex_numIfEiPS3_EEvT1_S5_T2_lS5_lPKT0_lS6_lS5_l.numbered_sgpr, 35
	.set _ZN9rocsolver6v33100L22larf_left_kernel_smallILi512E19rocblas_complex_numIfEiPS3_EEvT1_S5_T2_lS5_lPKT0_lS6_lS5_l.num_named_barrier, 0
	.set _ZN9rocsolver6v33100L22larf_left_kernel_smallILi512E19rocblas_complex_numIfEiPS3_EEvT1_S5_T2_lS5_lPKT0_lS6_lS5_l.private_seg_size, 0
	.set _ZN9rocsolver6v33100L22larf_left_kernel_smallILi512E19rocblas_complex_numIfEiPS3_EEvT1_S5_T2_lS5_lPKT0_lS6_lS5_l.uses_vcc, 1
	.set _ZN9rocsolver6v33100L22larf_left_kernel_smallILi512E19rocblas_complex_numIfEiPS3_EEvT1_S5_T2_lS5_lPKT0_lS6_lS5_l.uses_flat_scratch, 0
	.set _ZN9rocsolver6v33100L22larf_left_kernel_smallILi512E19rocblas_complex_numIfEiPS3_EEvT1_S5_T2_lS5_lPKT0_lS6_lS5_l.has_dyn_sized_stack, 0
	.set _ZN9rocsolver6v33100L22larf_left_kernel_smallILi512E19rocblas_complex_numIfEiPS3_EEvT1_S5_T2_lS5_lPKT0_lS6_lS5_l.has_recursion, 0
	.set _ZN9rocsolver6v33100L22larf_left_kernel_smallILi512E19rocblas_complex_numIfEiPS3_EEvT1_S5_T2_lS5_lPKT0_lS6_lS5_l.has_indirect_call, 0
	.section	.AMDGPU.csdata,"",@progbits
; Kernel info:
; codeLenInByte = 3004
; TotalNumSgprs: 37
; NumVgprs: 42
; ScratchSize: 0
; MemoryBound: 0
; FloatMode: 240
; IeeeMode: 1
; LDSByteSize: 20480 bytes/workgroup (compile time only)
; SGPRBlocks: 0
; VGPRBlocks: 2
; NumSGPRsForWavesPerEU: 37
; NumVGPRsForWavesPerEU: 42
; NamedBarCnt: 0
; Occupancy: 16
; WaveLimiterHint : 0
; COMPUTE_PGM_RSRC2:SCRATCH_EN: 0
; COMPUTE_PGM_RSRC2:USER_SGPR: 2
; COMPUTE_PGM_RSRC2:TRAP_HANDLER: 0
; COMPUTE_PGM_RSRC2:TGID_X_EN: 1
; COMPUTE_PGM_RSRC2:TGID_Y_EN: 1
; COMPUTE_PGM_RSRC2:TGID_Z_EN: 0
; COMPUTE_PGM_RSRC2:TIDIG_COMP_CNT: 0
	.section	.text._ZN9rocsolver6v33100L22larf_left_kernel_smallILi1024E19rocblas_complex_numIfEiPS3_EEvT1_S5_T2_lS5_lPKT0_lS6_lS5_l,"axG",@progbits,_ZN9rocsolver6v33100L22larf_left_kernel_smallILi1024E19rocblas_complex_numIfEiPS3_EEvT1_S5_T2_lS5_lPKT0_lS6_lS5_l,comdat
	.globl	_ZN9rocsolver6v33100L22larf_left_kernel_smallILi1024E19rocblas_complex_numIfEiPS3_EEvT1_S5_T2_lS5_lPKT0_lS6_lS5_l ; -- Begin function _ZN9rocsolver6v33100L22larf_left_kernel_smallILi1024E19rocblas_complex_numIfEiPS3_EEvT1_S5_T2_lS5_lPKT0_lS6_lS5_l
	.p2align	8
	.type	_ZN9rocsolver6v33100L22larf_left_kernel_smallILi1024E19rocblas_complex_numIfEiPS3_EEvT1_S5_T2_lS5_lPKT0_lS6_lS5_l,@function
_ZN9rocsolver6v33100L22larf_left_kernel_smallILi1024E19rocblas_complex_numIfEiPS3_EEvT1_S5_T2_lS5_lPKT0_lS6_lS5_l: ; @_ZN9rocsolver6v33100L22larf_left_kernel_smallILi1024E19rocblas_complex_numIfEiPS3_EEvT1_S5_T2_lS5_lPKT0_lS6_lS5_l
; %bb.0:
	s_clause 0x2
	s_load_b64 s[12:13], s[0:1], 0x0
	s_load_b256 s[4:11], s[0:1], 0x20
	s_load_b64 s[16:17], s[0:1], 0x40
	s_bfe_u32 s2, ttmp6, 0x4000c
	s_and_b32 s14, ttmp6, 15
	s_add_co_i32 s2, s2, 1
	s_getreg_b32 s3, hwreg(HW_REG_IB_STS2, 6, 4)
	s_mul_i32 s2, ttmp9, s2
	v_lshlrev_b32_e32 v2, 3, v0
	s_add_co_i32 s14, s14, s2
	s_cmp_eq_u32 s3, 0
	s_mov_b32 s18, 0
	s_cselect_b32 s14, ttmp9, s14
	s_delay_alu instid0(SALU_CYCLE_1)
	s_ashr_i32 s15, s14, 31
	s_wait_kmcnt 0x0
	v_cmp_gt_i32_e64 s2, s12, v0
	s_and_saveexec_b32 s19, s2
	s_cbranch_execz .LBB4_3
; %bb.1:
	s_clause 0x1
	s_load_b128 s[20:23], s[0:1], 0x8
	s_load_b32 s24, s[0:1], 0x18
	s_mul_u64 s[4:5], s[4:5], s[14:15]
	s_sub_co_i32 s25, 1, s12
	s_lshl_b64 s[4:5], s[4:5], 3
	v_dual_mov_b32 v4, v0 :: v_dual_lshlrev_b32 v3, 3, v0
	s_wait_kmcnt 0x0
	s_lshl_b64 s[22:23], s[22:23], 3
	s_mul_i32 s25, s24, s25
	s_cmp_lt_i32 s24, 1
	s_add_nc_u64 s[4:5], s[20:21], s[4:5]
	s_cselect_b32 s25, s25, 0
	s_add_nc_u64 s[4:5], s[4:5], s[22:23]
	v_mad_u32 v1, v0, s24, s25
	s_lshl_b32 s20, s24, 10
.LBB4_2:                                ; =>This Inner Loop Header: Depth=1
	global_load_b64 v[6:7], v1, s[4:5] scale_offset
	v_add_nc_u32_e32 v4, 0x400, v4
	s_wait_xcnt 0x0
	v_add_nc_u32_e32 v1, s20, v1
	s_delay_alu instid0(VALU_DEP_2)
	v_cmp_le_i32_e32 vcc_lo, s12, v4
	s_or_b32 s18, vcc_lo, s18
	s_wait_loadcnt 0x0
	ds_store_b64 v3, v[6:7]
	v_add_nc_u32_e32 v3, 0x2000, v3
	s_and_not1_b32 exec_lo, exec_lo, s18
	s_cbranch_execnz .LBB4_2
.LBB4_3:
	s_or_b32 exec_lo, exec_lo, s19
	s_bfe_u32 s4, ttmp6, 0x40010
	s_bfe_u32 s5, ttmp6, 0x40004
	s_add_co_i32 s4, s4, 1
	s_wait_dscnt 0x0
	s_mul_i32 s4, ttmp7, s4
	s_barrier_signal -1
	s_add_co_i32 s5, s5, s4
	s_cmp_eq_u32 s3, 0
	s_barrier_wait -1
	s_cselect_b32 s20, ttmp7, s5
	s_delay_alu instid0(SALU_CYCLE_1)
	s_cmp_ge_i32 s20, s13
	s_cbranch_scc1 .LBB4_37
; %bb.4:
	v_xad_u32 v3, v0, -1, s12
	s_clause 0x1
	s_load_b64 s[18:19], s[0:1], 0x50
	s_load_b32 s21, s[0:1], 0x48
	s_mul_u64 s[4:5], s[8:9], s[14:15]
	s_lshl_b64 s[16:17], s[16:17], 3
	v_dual_lshrrev_b32 v1, 10, v3 :: v_dual_bitop2_b32 v4, 31, v0 bitop3:0x40
	v_lshrrev_b32_e32 v6, 2, v0
	s_lshl_b64 s[4:5], s[4:5], 3
	v_cmp_lt_u32_e64 s3, 0x3ff, v3
	s_delay_alu instid0(VALU_DEP_3)
	v_add_nc_u32_e32 v5, -1, v1
	s_wait_xcnt 0x0
	v_cmp_eq_u32_e64 s1, 0, v4
	s_add_nc_u64 s[8:9], s[6:7], s[4:5]
	v_mbcnt_lo_u32_b32 v17, -1, 0
	v_cmp_eq_u32_e64 s0, 0, v0
	v_lshrrev_b32_e32 v4, 1, v5
	v_add_nc_u32_e32 v7, 1, v1
	v_cmp_lt_u32_e64 s4, 5, v5
	v_or_b32_e32 v1, 0x400, v0
	v_lshl_or_b32 v18, v17, 2, 64
	v_add_nc_u32_e32 v3, 1, v4
	s_wait_kmcnt 0x0
	s_mul_u64 s[6:7], s[18:19], s[14:15]
	v_and_b32_e32 v8, 0x7ffffe, v7
	s_lshl_b64 s[6:7], s[6:7], 3
	v_or_b32_e32 v19, 0x4000, v6
	v_and_b32_e32 v15, 3, v3
	v_dual_mov_b32 v3, 0 :: v_dual_bitop2_b32 v16, -4, v3 bitop3:0x40
	s_add_nc_u64 s[14:15], s[10:11], s[6:7]
	s_add_nc_u64 s[6:7], s[6:7], s[16:17]
	v_lshl_or_b32 v14, v8, 10, v0
	s_add_nc_u64 s[10:11], s[10:11], s[6:7]
	v_cmp_ne_u32_e64 s5, 0, v15
	v_add_nc_u64_e32 v[4:5], s[10:11], v[2:3]
	v_cmp_ne_u32_e64 s6, v7, v8
	v_mov_b32_e32 v20, 0x4008
	v_mov_b32_e32 v21, 0x4018
	;; [unrolled: 1-line block ×15, first 2 shown]
	s_cmp_gt_i32 s12, 1
	s_add_nc_u64 s[14:15], s[14:15], s[16:17]
	s_cselect_b32 s7, -1, 0
	s_mul_i32 s16, s20, s21
	s_lshl_b32 s22, s21, 6
	s_branch .LBB4_6
.LBB4_5:                                ;   in Loop: Header=BB4_6 Depth=1
	s_or_b32 exec_lo, exec_lo, s17
	s_add_co_i32 s20, s20, 64
	s_add_co_i32 s16, s16, s22
	s_cmp_ge_i32 s20, s13
	s_cbranch_scc1 .LBB4_37
.LBB4_6:                                ; =>This Loop Header: Depth=1
                                        ;     Child Loop BB4_8 Depth 2
                                        ;     Child Loop BB4_26 Depth 2
                                        ;     Child Loop BB4_30 Depth 2
                                        ;     Child Loop BB4_36 Depth 2
	v_mov_b64_e32 v[6:7], 0
	s_ashr_i32 s17, s16, 31
	s_delay_alu instid0(SALU_CYCLE_1)
	s_lshl_b64 s[18:19], s[16:17], 3
	s_and_saveexec_b32 s17, s2
	s_cbranch_execz .LBB4_10
; %bb.7:                                ;   in Loop: Header=BB4_6 Depth=1
	v_dual_mov_b32 v6, 0 :: v_dual_mov_b32 v10, v2
	v_add_nc_u64_e32 v[8:9], s[18:19], v[4:5]
	v_mov_b32_e32 v11, v0
	s_mov_b32 s23, 0
	s_delay_alu instid0(VALU_DEP_3)
	v_mov_b32_e32 v7, v6
.LBB4_8:                                ;   Parent Loop BB4_6 Depth=1
                                        ; =>  This Inner Loop Header: Depth=2
	global_load_b64 v[12:13], v[8:9], off
	ds_load_b64 v[36:37], v10
	s_wait_xcnt 0x0
	v_add_nc_u64_e32 v[8:9], 0x2000, v[8:9]
	v_add_nc_u32_e32 v11, 0x400, v11
	v_add_nc_u32_e32 v10, 0x2000, v10
	s_delay_alu instid0(VALU_DEP_2)
	v_cmp_le_i32_e32 vcc_lo, s12, v11
	s_or_b32 s23, vcc_lo, s23
	s_wait_dscnt 0x0
	v_mov_b32_e32 v40, v37
	s_wait_loadcnt 0x0
	v_pk_mul_f32 v[38:39], v[12:13], v[36:37] op_sel_hi:[1,0]
	s_delay_alu instid0(VALU_DEP_1) | instskip(NEXT) | instid1(VALU_DEP_3)
	v_pk_fma_f32 v[36:37], v[12:13], v[36:37], v[38:39] op_sel:[1,1,0] op_sel_hi:[0,1,1] neg_lo:[0,0,1] neg_hi:[0,0,1]
	v_pk_fma_f32 v[12:13], v[12:13], v[40:41], v[38:39] op_sel:[1,0,0] op_sel_hi:[0,1,1]
	s_delay_alu instid0(VALU_DEP_2) | instskip(NEXT) | instid1(VALU_DEP_1)
	v_mov_b32_e32 v13, v37
	v_pk_add_f32 v[6:7], v[6:7], v[12:13]
	s_and_not1_b32 exec_lo, exec_lo, s23
	s_cbranch_execnz .LBB4_8
; %bb.9:                                ;   in Loop: Header=BB4_6 Depth=1
	s_or_b32 exec_lo, exec_lo, s23
.LBB4_10:                               ;   in Loop: Header=BB4_6 Depth=1
	s_delay_alu instid0(SALU_CYCLE_1) | instskip(NEXT) | instid1(SALU_CYCLE_1)
	s_or_b32 exec_lo, exec_lo, s17
	s_and_b32 vcc_lo, exec_lo, s7
	s_cbranch_vccz .LBB4_17
; %bb.11:                               ;   in Loop: Header=BB4_6 Depth=1
	v_cmp_ne_u32_e32 vcc_lo, 31, v17
	v_add_co_ci_u32_e64 v8, null, 0, v17, vcc_lo
	v_cmp_gt_u32_e32 vcc_lo, 30, v17
	s_delay_alu instid0(VALU_DEP_2)
	v_lshlrev_b32_e32 v9, 2, v8
	v_cndmask_b32_e64 v10, 0, 2, vcc_lo
	v_cmp_gt_u32_e32 vcc_lo, 28, v17
	ds_bpermute_b32 v8, v9, v6
	ds_bpermute_b32 v9, v9, v7
	v_add_lshl_u32 v11, v10, v17, 2
	v_cndmask_b32_e64 v12, 0, 4, vcc_lo
	v_cmp_gt_u32_e32 vcc_lo, 24, v17
	s_delay_alu instid0(VALU_DEP_2)
	v_add_lshl_u32 v12, v12, v17, 2
	s_wait_dscnt 0x0
	v_pk_add_f32 v[8:9], v[6:7], v[8:9]
	ds_bpermute_b32 v10, v11, v8
	ds_bpermute_b32 v11, v11, v9
	s_wait_dscnt 0x0
	v_pk_add_f32 v[8:9], v[8:9], v[10:11]
	ds_bpermute_b32 v10, v12, v8
	ds_bpermute_b32 v11, v12, v9
	v_cndmask_b32_e64 v12, 0, 8, vcc_lo
	s_delay_alu instid0(VALU_DEP_1)
	v_add_lshl_u32 v12, v12, v17, 2
	s_wait_dscnt 0x0
	v_pk_add_f32 v[8:9], v[8:9], v[10:11]
	ds_bpermute_b32 v10, v12, v8
	ds_bpermute_b32 v11, v12, v9
	s_wait_dscnt 0x0
	v_pk_add_f32 v[8:9], v[8:9], v[10:11]
	ds_bpermute_b32 v10, v18, v8
	ds_bpermute_b32 v11, v18, v9
	s_wait_dscnt 0x0
	v_pk_add_f32 v[8:9], v[8:9], v[10:11]
	s_and_saveexec_b32 s17, s1
; %bb.12:                               ;   in Loop: Header=BB4_6 Depth=1
	ds_store_2addr_b32 v19, v8, v9 offset1:1
; %bb.13:                               ;   in Loop: Header=BB4_6 Depth=1
	s_or_b32 exec_lo, exec_lo, s17
	s_mov_b32 s23, 0
	s_mov_b32 s17, 0
	s_wait_dscnt 0x0
	s_barrier_signal -1
	s_barrier_wait -1
                                        ; implicit-def: $vgpr10_vgpr11
	s_and_saveexec_b32 s24, s0
	s_delay_alu instid0(SALU_CYCLE_1)
	s_xor_b32 s24, exec_lo, s24
	s_cbranch_execz .LBB4_15
; %bb.14:                               ;   in Loop: Header=BB4_6 Depth=1
	ds_load_2addr_b64 v[10:13], v20 offset1:1
	ds_load_2addr_b64 v[36:39], v21 offset1:1
	;; [unrolled: 1-line block ×3, first 2 shown]
	s_mov_b32 s17, exec_lo
	s_wait_dscnt 0x2
	v_pk_add_f32 v[8:9], v[8:9], v[10:11]
	s_delay_alu instid0(VALU_DEP_1) | instskip(SKIP_3) | instid1(VALU_DEP_1)
	v_pk_add_f32 v[12:13], v[8:9], v[12:13]
	ds_load_2addr_b64 v[8:11], v23 offset1:1
	s_wait_dscnt 0x2
	v_pk_add_f32 v[12:13], v[12:13], v[36:37]
	v_pk_add_f32 v[12:13], v[12:13], v[38:39]
	ds_load_2addr_b64 v[36:39], v24 offset1:1
	s_wait_dscnt 0x2
	v_pk_add_f32 v[12:13], v[12:13], v[40:41]
	s_delay_alu instid0(VALU_DEP_1) | instskip(SKIP_3) | instid1(VALU_DEP_1)
	v_pk_add_f32 v[12:13], v[12:13], v[42:43]
	ds_load_2addr_b64 v[40:43], v25 offset1:1
	s_wait_dscnt 0x2
	v_pk_add_f32 v[8:9], v[12:13], v[8:9]
	v_pk_add_f32 v[12:13], v[8:9], v[10:11]
	ds_load_2addr_b64 v[8:11], v26 offset1:1
	;; [unrolled: 9-line block ×6, first 2 shown]
	s_wait_dscnt 0x2
	v_pk_add_f32 v[8:9], v[12:13], v[8:9]
	s_delay_alu instid0(VALU_DEP_1) | instskip(SKIP_3) | instid1(VALU_DEP_1)
	v_pk_add_f32 v[8:9], v[8:9], v[10:11]
	ds_load_b64 v[10:11], v3 offset:16632
	s_wait_dscnt 0x2
	v_pk_add_f32 v[8:9], v[8:9], v[36:37]
	v_pk_add_f32 v[8:9], v[8:9], v[38:39]
	s_wait_dscnt 0x1
	s_delay_alu instid0(VALU_DEP_1) | instskip(NEXT) | instid1(VALU_DEP_1)
	v_pk_add_f32 v[8:9], v[8:9], v[40:41]
	v_pk_add_f32 v[8:9], v[8:9], v[42:43]
	s_wait_dscnt 0x0
	s_delay_alu instid0(VALU_DEP_1)
	v_pk_add_f32 v[10:11], v[8:9], v[10:11]
.LBB4_15:                               ;   in Loop: Header=BB4_6 Depth=1
	s_or_b32 exec_lo, exec_lo, s24
	s_delay_alu instid0(SALU_CYCLE_1)
	s_and_b32 vcc_lo, exec_lo, s23
	s_cbranch_vccnz .LBB4_18
.LBB4_16:                               ;   in Loop: Header=BB4_6 Depth=1
	s_delay_alu instid0(VALU_DEP_1)
	v_mov_b64_e32 v[6:7], v[10:11]
	s_and_saveexec_b32 s23, s17
	s_cbranch_execnz .LBB4_19
	s_branch .LBB4_20
.LBB4_17:                               ;   in Loop: Header=BB4_6 Depth=1
	s_mov_b32 s17, 0
                                        ; implicit-def: $vgpr10_vgpr11
	s_cbranch_execz .LBB4_16
.LBB4_18:                               ;   in Loop: Header=BB4_6 Depth=1
	s_and_not1_b32 s17, s17, exec_lo
	s_and_b32 s23, s0, exec_lo
	s_delay_alu instid0(SALU_CYCLE_1) | instskip(NEXT) | instid1(SALU_CYCLE_1)
	s_or_b32 s17, s17, s23
	s_and_saveexec_b32 s23, s17
.LBB4_19:                               ;   in Loop: Header=BB4_6 Depth=1
	ds_store_b64 v3, v[6:7] offset:16384
.LBB4_20:                               ;   in Loop: Header=BB4_6 Depth=1
	s_or_b32 exec_lo, exec_lo, s23
	s_wait_dscnt 0x0
	s_barrier_signal -1
	s_barrier_wait -1
	s_and_saveexec_b32 s17, s2
	s_cbranch_execz .LBB4_5
; %bb.21:                               ;   in Loop: Header=BB4_6 Depth=1
	global_load_b64 v[10:11], v3, s[8:9]
	ds_load_b64 v[12:13], v3 offset:16384
	s_mov_b32 s24, 0
                                        ; implicit-def: $vgpr35
	s_wait_loadcnt_dscnt 0x0
	v_dual_mul_f32 v6, v11, v13 :: v_dual_mul_f32 v7, v11, v12
	v_xor_b32_e32 v9, 0x80000000, v10
	s_delay_alu instid0(VALU_DEP_2) | instskip(NEXT) | instid1(VALU_DEP_3)
	v_xor_b32_e32 v6, 0x80000000, v6
	v_xor_b32_e32 v8, 0x80000000, v7
	s_delay_alu instid0(VALU_DEP_2) | instskip(NEXT) | instid1(VALU_DEP_2)
	v_fmac_f32_e32 v6, v12, v9
	v_fmac_f32_e32 v8, v10, v13
	s_wait_xcnt 0x0
	s_and_saveexec_b32 s23, s3
	s_delay_alu instid0(SALU_CYCLE_1)
	s_xor_b32 s23, exec_lo, s23
	s_cbranch_execnz .LBB4_24
; %bb.22:                               ;   in Loop: Header=BB4_6 Depth=1
	s_or_saveexec_b32 s23, s23
	v_mov_b32_e32 v10, v14
	s_xor_b32 exec_lo, exec_lo, s23
	s_cbranch_execnz .LBB4_34
.LBB4_23:                               ;   in Loop: Header=BB4_6 Depth=1
	s_or_b32 exec_lo, exec_lo, s23
	s_delay_alu instid0(SALU_CYCLE_1)
	s_and_b32 exec_lo, exec_lo, s24
	s_cbranch_execz .LBB4_5
	s_branch .LBB4_35
.LBB4_24:                               ;   in Loop: Header=BB4_6 Depth=1
	v_mov_b64_e32 v[10:11], v[0:1]
	v_dual_mov_b32 v7, v6 :: v_dual_mov_b32 v9, v8
	v_mov_b32_e32 v35, 0
	s_mul_i32 s24, s20, s21
	s_and_saveexec_b32 s25, s4
	s_cbranch_execz .LBB4_28
; %bb.25:                               ;   in Loop: Header=BB4_6 Depth=1
	v_mov_b64_e32 v[10:11], v[0:1]
	v_dual_mov_b32 v12, v16 :: v_dual_mov_b32 v13, v2
	s_add_co_i32 s26, s24, 0x800
	s_add_co_i32 s27, s24, 0x1000
	;; [unrolled: 1-line block ×3, first 2 shown]
	s_mov_b32 s28, s26
	s_mov_b32 s29, s27
	;; [unrolled: 1-line block ×5, first 2 shown]
.LBB4_26:                               ;   Parent Loop BB4_6 Depth=1
                                        ; =>  This Inner Loop Header: Depth=2
	v_dual_add_nc_u32 v35, s24, v10 :: v_dual_add_nc_u32 v46, s24, v11
	v_dual_add_nc_u32 v47, s28, v11 :: v_dual_add_nc_u32 v48, s26, v10
	s_add_co_i32 s34, s34, 8
	s_clause 0x1
	global_load_b64 v[40:41], v35, s[14:15] scale_offset
	global_load_b64 v[42:43], v46, s[14:15] scale_offset
	ds_load_2addr_stride64_b64 v[36:39], v13 offset1:16
	s_wait_dscnt 0x0
	v_dual_mov_b32 v45, v38 :: v_dual_mov_b32 v38, v37
	v_mov_b32_e32 v44, v36
	s_delay_alu instid0(VALU_DEP_2) | instskip(SKIP_1) | instid1(VALU_DEP_2)
	v_pk_mul_f32 v[36:37], v[8:9], v[38:39]
	v_pk_mul_f32 v[38:39], v[6:7], v[38:39]
	v_pk_fma_f32 v[36:37], v[6:7], v[44:45], v[36:37] neg_lo:[0,0,1] neg_hi:[0,0,1]
	s_delay_alu instid0(VALU_DEP_2) | instskip(SKIP_3) | instid1(VALU_DEP_2)
	v_pk_fma_f32 v[38:39], v[8:9], v[44:45], v[38:39]
	s_wait_loadcnt 0x0
	v_dual_mov_b32 v44, v40 :: v_dual_mov_b32 v45, v42
	v_mov_b32_e32 v42, v41
	v_pk_add_f32 v[36:37], v[44:45], v[36:37]
	s_delay_alu instid0(VALU_DEP_2) | instskip(NEXT) | instid1(VALU_DEP_1)
	v_pk_add_f32 v[38:39], v[38:39], v[42:43]
	v_dual_mov_b32 v40, v36 :: v_dual_mov_b32 v41, v38
	s_delay_alu instid0(VALU_DEP_3)
	v_mov_b32_e32 v38, v37
	s_clause 0x3
	global_store_b64 v35, v[40:41], s[14:15] scale_offset
	global_store_b64 v46, v[38:39], s[14:15] scale_offset
	global_load_b64 v[40:41], v48, s[14:15] scale_offset
	global_load_b64 v[42:43], v47, s[14:15] scale_offset
	s_wait_xcnt 0x2
	ds_load_2addr_stride64_b64 v[36:39], v13 offset0:32 offset1:48
	v_dual_add_nc_u32 v46, s27, v10 :: v_dual_add_nc_u32 v35, s29, v11
	s_wait_dscnt 0x0
	v_dual_mov_b32 v45, v38 :: v_dual_mov_b32 v38, v37
	v_mov_b32_e32 v44, v36
	s_delay_alu instid0(VALU_DEP_2) | instskip(SKIP_1) | instid1(VALU_DEP_2)
	v_pk_mul_f32 v[36:37], v[8:9], v[38:39]
	v_pk_mul_f32 v[38:39], v[6:7], v[38:39]
	v_pk_fma_f32 v[36:37], v[6:7], v[44:45], v[36:37] neg_lo:[0,0,1] neg_hi:[0,0,1]
	s_delay_alu instid0(VALU_DEP_2) | instskip(SKIP_2) | instid1(VALU_DEP_1)
	v_pk_fma_f32 v[38:39], v[8:9], v[44:45], v[38:39]
	s_wait_loadcnt 0x0
	v_dual_mov_b32 v44, v40 :: v_dual_mov_b32 v45, v42
	v_pk_add_f32 v[36:37], v[44:45], v[36:37]
	s_delay_alu instid0(VALU_DEP_1) | instskip(NEXT) | instid1(VALU_DEP_1)
	v_dual_mov_b32 v42, v41 :: v_dual_mov_b32 v40, v36
	v_pk_add_f32 v[38:39], v[38:39], v[42:43]
	s_delay_alu instid0(VALU_DEP_1)
	v_dual_mov_b32 v41, v38 :: v_dual_mov_b32 v38, v37
	s_clause 0x3
	global_store_b64 v48, v[40:41], s[14:15] scale_offset
	global_store_b64 v47, v[38:39], s[14:15] scale_offset
	global_load_b64 v[40:41], v46, s[14:15] scale_offset
	global_load_b64 v[42:43], v35, s[14:15] scale_offset
	s_wait_xcnt 0x2
	ds_load_2addr_stride64_b64 v[36:39], v13 offset0:64 offset1:80
	v_dual_add_nc_u32 v47, s33, v11 :: v_dual_add_nc_u32 v48, s30, v10
	v_add_nc_u32_e32 v11, 0x2000, v11
	s_wait_dscnt 0x0
	v_dual_mov_b32 v45, v38 :: v_dual_mov_b32 v38, v37
	v_mov_b32_e32 v44, v36
	s_delay_alu instid0(VALU_DEP_2) | instskip(SKIP_1) | instid1(VALU_DEP_2)
	v_pk_mul_f32 v[36:37], v[8:9], v[38:39]
	v_pk_mul_f32 v[38:39], v[6:7], v[38:39]
	v_pk_fma_f32 v[36:37], v[6:7], v[44:45], v[36:37] neg_lo:[0,0,1] neg_hi:[0,0,1]
	s_delay_alu instid0(VALU_DEP_2) | instskip(SKIP_3) | instid1(VALU_DEP_2)
	v_pk_fma_f32 v[38:39], v[8:9], v[44:45], v[38:39]
	s_wait_loadcnt 0x0
	v_dual_mov_b32 v44, v40 :: v_dual_mov_b32 v45, v42
	v_mov_b32_e32 v42, v41
	v_pk_add_f32 v[36:37], v[44:45], v[36:37]
	s_delay_alu instid0(VALU_DEP_2) | instskip(NEXT) | instid1(VALU_DEP_1)
	v_pk_add_f32 v[38:39], v[38:39], v[42:43]
	v_dual_mov_b32 v40, v36 :: v_dual_mov_b32 v41, v38
	s_delay_alu instid0(VALU_DEP_3)
	v_mov_b32_e32 v38, v37
	s_clause 0x3
	global_store_b64 v46, v[40:41], s[14:15] scale_offset
	global_store_b64 v35, v[38:39], s[14:15] scale_offset
	global_load_b64 v[40:41], v48, s[14:15] scale_offset
	global_load_b64 v[42:43], v47, s[14:15] scale_offset
	s_wait_xcnt 0x2
	ds_load_2addr_stride64_b64 v[36:39], v13 offset0:96 offset1:112
	s_wait_dscnt 0x0
	v_dual_mov_b32 v35, s34 :: v_dual_mov_b32 v45, v38
	v_dual_mov_b32 v38, v37 :: v_dual_mov_b32 v44, v36
	s_delay_alu instid0(VALU_DEP_1) | instskip(SKIP_1) | instid1(VALU_DEP_2)
	v_pk_mul_f32 v[36:37], v[8:9], v[38:39]
	v_pk_mul_f32 v[38:39], v[6:7], v[38:39]
	v_pk_fma_f32 v[36:37], v[6:7], v[44:45], v[36:37] neg_lo:[0,0,1] neg_hi:[0,0,1]
	s_delay_alu instid0(VALU_DEP_2) | instskip(SKIP_3) | instid1(VALU_DEP_2)
	v_pk_fma_f32 v[38:39], v[8:9], v[44:45], v[38:39]
	s_wait_loadcnt 0x0
	v_dual_mov_b32 v44, v40 :: v_dual_mov_b32 v45, v42
	v_mov_b32_e32 v42, v41
	v_pk_add_f32 v[36:37], v[44:45], v[36:37]
	v_add_nc_u32_e32 v12, -4, v12
	s_delay_alu instid0(VALU_DEP_3) | instskip(SKIP_1) | instid1(VALU_DEP_4)
	v_pk_add_f32 v[38:39], v[38:39], v[42:43]
	v_add_nc_u32_e32 v10, 0x2000, v10
	v_dual_mov_b32 v40, v36 :: v_dual_add_nc_u32 v13, 0x10000, v13
	s_delay_alu instid0(VALU_DEP_4) | instskip(NEXT) | instid1(VALU_DEP_4)
	v_cmp_eq_u32_e32 vcc_lo, 0, v12
	v_dual_mov_b32 v41, v38 :: v_dual_mov_b32 v38, v37
	s_clause 0x1
	global_store_b64 v48, v[40:41], s[14:15] scale_offset
	global_store_b64 v47, v[38:39], s[14:15] scale_offset
	s_or_b32 s31, vcc_lo, s31
	s_wait_xcnt 0x0
	s_and_not1_b32 exec_lo, exec_lo, s31
	s_cbranch_execnz .LBB4_26
; %bb.27:                               ;   in Loop: Header=BB4_6 Depth=1
	s_or_b32 exec_lo, exec_lo, s31
.LBB4_28:                               ;   in Loop: Header=BB4_6 Depth=1
	s_delay_alu instid0(SALU_CYCLE_1)
	s_or_b32 exec_lo, exec_lo, s25
	s_and_saveexec_b32 s25, s5
	s_cbranch_execz .LBB4_31
; %bb.29:                               ;   in Loop: Header=BB4_6 Depth=1
	v_lshl_or_b32 v12, v35, 13, v2
	v_mov_b32_e32 v13, v15
	s_mov_b32 s26, 0
.LBB4_30:                               ;   Parent Loop BB4_6 Depth=1
                                        ; =>  This Inner Loop Header: Depth=2
	v_dual_add_nc_u32 v35, s24, v10 :: v_dual_add_nc_u32 v46, s24, v11
	v_add_nc_u32_e32 v10, 0x800, v10
	s_clause 0x1
	global_load_b64 v[40:41], v35, s[14:15] scale_offset
	global_load_b64 v[42:43], v46, s[14:15] scale_offset
	ds_load_2addr_stride64_b64 v[36:39], v12 offset1:16
	s_wait_dscnt 0x0
	v_dual_mov_b32 v45, v38 :: v_dual_add_nc_u32 v12, 0x4000, v12
	v_dual_mov_b32 v38, v37 :: v_dual_mov_b32 v44, v36
	s_delay_alu instid0(VALU_DEP_1) | instskip(SKIP_1) | instid1(VALU_DEP_2)
	v_pk_mul_f32 v[36:37], v[8:9], v[38:39]
	v_pk_mul_f32 v[38:39], v[6:7], v[38:39]
	v_pk_fma_f32 v[36:37], v[6:7], v[44:45], v[36:37] neg_lo:[0,0,1] neg_hi:[0,0,1]
	s_delay_alu instid0(VALU_DEP_2) | instskip(SKIP_3) | instid1(VALU_DEP_2)
	v_pk_fma_f32 v[38:39], v[8:9], v[44:45], v[38:39]
	s_wait_loadcnt 0x0
	v_dual_mov_b32 v44, v40 :: v_dual_mov_b32 v45, v42
	v_mov_b32_e32 v42, v41
	v_pk_add_f32 v[36:37], v[44:45], v[36:37]
	s_delay_alu instid0(VALU_DEP_2) | instskip(SKIP_1) | instid1(VALU_DEP_3)
	v_pk_add_f32 v[38:39], v[38:39], v[42:43]
	v_add_nc_u32_e32 v13, -1, v13
	v_dual_mov_b32 v40, v36 :: v_dual_add_nc_u32 v11, 0x800, v11
	s_delay_alu instid0(VALU_DEP_3) | instskip(NEXT) | instid1(VALU_DEP_3)
	v_mov_b32_e32 v41, v38
	v_cmp_eq_u32_e32 vcc_lo, 0, v13
	v_mov_b32_e32 v38, v37
	s_clause 0x1
	global_store_b64 v35, v[40:41], s[14:15] scale_offset
	global_store_b64 v46, v[38:39], s[14:15] scale_offset
	s_or_b32 s26, vcc_lo, s26
	s_wait_xcnt 0x0
	s_and_not1_b32 exec_lo, exec_lo, s26
	s_cbranch_execnz .LBB4_30
.LBB4_31:                               ;   in Loop: Header=BB4_6 Depth=1
	s_or_b32 exec_lo, exec_lo, s25
	s_mov_b32 s24, 0
                                        ; implicit-def: $vgpr35
	s_and_saveexec_b32 s25, s6
	s_delay_alu instid0(SALU_CYCLE_1)
	s_xor_b32 s25, exec_lo, s25
; %bb.32:                               ;   in Loop: Header=BB4_6 Depth=1
	v_lshlrev_b32_e32 v35, 3, v14
	s_mov_b32 s24, exec_lo
; %bb.33:                               ;   in Loop: Header=BB4_6 Depth=1
	s_or_b32 exec_lo, exec_lo, s25
	s_delay_alu instid0(SALU_CYCLE_1)
	s_and_b32 s24, s24, exec_lo
	s_or_saveexec_b32 s23, s23
	v_mov_b32_e32 v10, v14
	s_xor_b32 exec_lo, exec_lo, s23
	s_cbranch_execz .LBB4_23
.LBB4_34:                               ;   in Loop: Header=BB4_6 Depth=1
	v_dual_mov_b32 v10, v0 :: v_dual_mov_b32 v35, v2
	s_or_b32 s24, s24, exec_lo
	s_or_b32 exec_lo, exec_lo, s23
	s_delay_alu instid0(SALU_CYCLE_1)
	s_and_b32 exec_lo, exec_lo, s24
	s_cbranch_execz .LBB4_5
.LBB4_35:                               ;   in Loop: Header=BB4_6 Depth=1
	v_dual_ashrrev_i32 v11, 31, v10 :: v_dual_mov_b32 v9, v8
	s_add_nc_u64 s[18:19], s[10:11], s[18:19]
	v_mov_b32_e32 v7, v6
	s_delay_alu instid0(VALU_DEP_2)
	v_lshl_add_u64 v[12:13], v[10:11], 3, s[18:19]
	s_mov_b32 s18, 0
.LBB4_36:                               ;   Parent Loop BB4_6 Depth=1
                                        ; =>  This Inner Loop Header: Depth=2
	global_load_b64 v[36:37], v[12:13], off
	ds_load_b64 v[38:39], v35
	v_add_nc_u32_e32 v35, 0x2000, v35
	v_add_nc_u32_e32 v10, 0x400, v10
	s_delay_alu instid0(VALU_DEP_1) | instskip(SKIP_3) | instid1(VALU_DEP_1)
	v_cmp_le_i32_e32 vcc_lo, s12, v10
	s_or_b32 s18, vcc_lo, s18
	s_wait_dscnt 0x0
	v_pk_mul_f32 v[40:41], v[8:9], v[38:39] op_sel:[0,1] op_sel_hi:[1,0]
	v_pk_fma_f32 v[42:43], v[6:7], v[38:39], v[40:41]
	v_pk_fma_f32 v[38:39], v[6:7], v[38:39], v[40:41] neg_lo:[0,0,1] neg_hi:[0,0,1]
	s_delay_alu instid0(VALU_DEP_2) | instskip(SKIP_1) | instid1(VALU_DEP_1)
	v_mov_b32_e32 v39, v43
	s_wait_loadcnt 0x0
	v_pk_add_f32 v[36:37], v[36:37], v[38:39]
	global_store_b64 v[12:13], v[36:37], off
	s_wait_xcnt 0x0
	v_add_nc_u64_e32 v[12:13], 0x2000, v[12:13]
	s_and_not1_b32 exec_lo, exec_lo, s18
	s_cbranch_execnz .LBB4_36
	s_branch .LBB4_5
.LBB4_37:
	s_endpgm
	.section	.rodata,"a",@progbits
	.p2align	6, 0x0
	.amdhsa_kernel _ZN9rocsolver6v33100L22larf_left_kernel_smallILi1024E19rocblas_complex_numIfEiPS3_EEvT1_S5_T2_lS5_lPKT0_lS6_lS5_l
		.amdhsa_group_segment_fixed_size 24576
		.amdhsa_private_segment_fixed_size 0
		.amdhsa_kernarg_size 88
		.amdhsa_user_sgpr_count 2
		.amdhsa_user_sgpr_dispatch_ptr 0
		.amdhsa_user_sgpr_queue_ptr 0
		.amdhsa_user_sgpr_kernarg_segment_ptr 1
		.amdhsa_user_sgpr_dispatch_id 0
		.amdhsa_user_sgpr_kernarg_preload_length 0
		.amdhsa_user_sgpr_kernarg_preload_offset 0
		.amdhsa_user_sgpr_private_segment_size 0
		.amdhsa_wavefront_size32 1
		.amdhsa_uses_dynamic_stack 0
		.amdhsa_enable_private_segment 0
		.amdhsa_system_sgpr_workgroup_id_x 1
		.amdhsa_system_sgpr_workgroup_id_y 1
		.amdhsa_system_sgpr_workgroup_id_z 0
		.amdhsa_system_sgpr_workgroup_info 0
		.amdhsa_system_vgpr_workitem_id 0
		.amdhsa_next_free_vgpr 49
		.amdhsa_next_free_sgpr 35
		.amdhsa_named_barrier_count 0
		.amdhsa_reserve_vcc 1
		.amdhsa_float_round_mode_32 0
		.amdhsa_float_round_mode_16_64 0
		.amdhsa_float_denorm_mode_32 3
		.amdhsa_float_denorm_mode_16_64 3
		.amdhsa_fp16_overflow 0
		.amdhsa_memory_ordered 1
		.amdhsa_forward_progress 1
		.amdhsa_inst_pref_size 26
		.amdhsa_round_robin_scheduling 0
		.amdhsa_exception_fp_ieee_invalid_op 0
		.amdhsa_exception_fp_denorm_src 0
		.amdhsa_exception_fp_ieee_div_zero 0
		.amdhsa_exception_fp_ieee_overflow 0
		.amdhsa_exception_fp_ieee_underflow 0
		.amdhsa_exception_fp_ieee_inexact 0
		.amdhsa_exception_int_div_zero 0
	.end_amdhsa_kernel
	.section	.text._ZN9rocsolver6v33100L22larf_left_kernel_smallILi1024E19rocblas_complex_numIfEiPS3_EEvT1_S5_T2_lS5_lPKT0_lS6_lS5_l,"axG",@progbits,_ZN9rocsolver6v33100L22larf_left_kernel_smallILi1024E19rocblas_complex_numIfEiPS3_EEvT1_S5_T2_lS5_lPKT0_lS6_lS5_l,comdat
.Lfunc_end4:
	.size	_ZN9rocsolver6v33100L22larf_left_kernel_smallILi1024E19rocblas_complex_numIfEiPS3_EEvT1_S5_T2_lS5_lPKT0_lS6_lS5_l, .Lfunc_end4-_ZN9rocsolver6v33100L22larf_left_kernel_smallILi1024E19rocblas_complex_numIfEiPS3_EEvT1_S5_T2_lS5_lPKT0_lS6_lS5_l
                                        ; -- End function
	.set _ZN9rocsolver6v33100L22larf_left_kernel_smallILi1024E19rocblas_complex_numIfEiPS3_EEvT1_S5_T2_lS5_lPKT0_lS6_lS5_l.num_vgpr, 49
	.set _ZN9rocsolver6v33100L22larf_left_kernel_smallILi1024E19rocblas_complex_numIfEiPS3_EEvT1_S5_T2_lS5_lPKT0_lS6_lS5_l.num_agpr, 0
	.set _ZN9rocsolver6v33100L22larf_left_kernel_smallILi1024E19rocblas_complex_numIfEiPS3_EEvT1_S5_T2_lS5_lPKT0_lS6_lS5_l.numbered_sgpr, 35
	.set _ZN9rocsolver6v33100L22larf_left_kernel_smallILi1024E19rocblas_complex_numIfEiPS3_EEvT1_S5_T2_lS5_lPKT0_lS6_lS5_l.num_named_barrier, 0
	.set _ZN9rocsolver6v33100L22larf_left_kernel_smallILi1024E19rocblas_complex_numIfEiPS3_EEvT1_S5_T2_lS5_lPKT0_lS6_lS5_l.private_seg_size, 0
	.set _ZN9rocsolver6v33100L22larf_left_kernel_smallILi1024E19rocblas_complex_numIfEiPS3_EEvT1_S5_T2_lS5_lPKT0_lS6_lS5_l.uses_vcc, 1
	.set _ZN9rocsolver6v33100L22larf_left_kernel_smallILi1024E19rocblas_complex_numIfEiPS3_EEvT1_S5_T2_lS5_lPKT0_lS6_lS5_l.uses_flat_scratch, 0
	.set _ZN9rocsolver6v33100L22larf_left_kernel_smallILi1024E19rocblas_complex_numIfEiPS3_EEvT1_S5_T2_lS5_lPKT0_lS6_lS5_l.has_dyn_sized_stack, 0
	.set _ZN9rocsolver6v33100L22larf_left_kernel_smallILi1024E19rocblas_complex_numIfEiPS3_EEvT1_S5_T2_lS5_lPKT0_lS6_lS5_l.has_recursion, 0
	.set _ZN9rocsolver6v33100L22larf_left_kernel_smallILi1024E19rocblas_complex_numIfEiPS3_EEvT1_S5_T2_lS5_lPKT0_lS6_lS5_l.has_indirect_call, 0
	.section	.AMDGPU.csdata,"",@progbits
; Kernel info:
; codeLenInByte = 3312
; TotalNumSgprs: 37
; NumVgprs: 49
; ScratchSize: 0
; MemoryBound: 0
; FloatMode: 240
; IeeeMode: 1
; LDSByteSize: 24576 bytes/workgroup (compile time only)
; SGPRBlocks: 0
; VGPRBlocks: 3
; NumSGPRsForWavesPerEU: 37
; NumVGPRsForWavesPerEU: 49
; NamedBarCnt: 0
; Occupancy: 16
; WaveLimiterHint : 0
; COMPUTE_PGM_RSRC2:SCRATCH_EN: 0
; COMPUTE_PGM_RSRC2:USER_SGPR: 2
; COMPUTE_PGM_RSRC2:TRAP_HANDLER: 0
; COMPUTE_PGM_RSRC2:TGID_X_EN: 1
; COMPUTE_PGM_RSRC2:TGID_Y_EN: 1
; COMPUTE_PGM_RSRC2:TGID_Z_EN: 0
; COMPUTE_PGM_RSRC2:TIDIG_COMP_CNT: 0
	.section	.text._ZN9rocsolver6v33100L23larf_right_kernel_smallILi64E19rocblas_complex_numIfEiPS3_EEvT1_S5_T2_lS5_lPKT0_lS6_lS5_l,"axG",@progbits,_ZN9rocsolver6v33100L23larf_right_kernel_smallILi64E19rocblas_complex_numIfEiPS3_EEvT1_S5_T2_lS5_lPKT0_lS6_lS5_l,comdat
	.globl	_ZN9rocsolver6v33100L23larf_right_kernel_smallILi64E19rocblas_complex_numIfEiPS3_EEvT1_S5_T2_lS5_lPKT0_lS6_lS5_l ; -- Begin function _ZN9rocsolver6v33100L23larf_right_kernel_smallILi64E19rocblas_complex_numIfEiPS3_EEvT1_S5_T2_lS5_lPKT0_lS6_lS5_l
	.p2align	8
	.type	_ZN9rocsolver6v33100L23larf_right_kernel_smallILi64E19rocblas_complex_numIfEiPS3_EEvT1_S5_T2_lS5_lPKT0_lS6_lS5_l,@function
_ZN9rocsolver6v33100L23larf_right_kernel_smallILi64E19rocblas_complex_numIfEiPS3_EEvT1_S5_T2_lS5_lPKT0_lS6_lS5_l: ; @_ZN9rocsolver6v33100L23larf_right_kernel_smallILi64E19rocblas_complex_numIfEiPS3_EEvT1_S5_T2_lS5_lPKT0_lS6_lS5_l
; %bb.0:
	s_clause 0x2
	s_load_b64 s[12:13], s[0:1], 0x0
	s_load_b256 s[4:11], s[0:1], 0x20
	s_load_b64 s[16:17], s[0:1], 0x40
	s_bfe_u32 s2, ttmp6, 0x4000c
	s_and_b32 s14, ttmp6, 15
	s_add_co_i32 s2, s2, 1
	s_getreg_b32 s3, hwreg(HW_REG_IB_STS2, 6, 4)
	s_mul_i32 s2, ttmp9, s2
	v_lshlrev_b32_e32 v1, 3, v0
	s_add_co_i32 s14, s14, s2
	s_cmp_eq_u32 s3, 0
	s_mov_b32 s18, 0
	s_cselect_b32 s14, ttmp9, s14
	s_delay_alu instid0(SALU_CYCLE_1)
	s_ashr_i32 s15, s14, 31
	s_wait_kmcnt 0x0
	v_cmp_gt_i32_e64 s2, s13, v0
	s_and_saveexec_b32 s19, s2
	s_cbranch_execz .LBB5_3
; %bb.1:
	s_clause 0x1
	s_load_b128 s[20:23], s[0:1], 0x8
	s_load_b32 s24, s[0:1], 0x18
	s_mul_u64 s[4:5], s[4:5], s[14:15]
	s_sub_co_i32 s25, 1, s13
	s_lshl_b64 s[4:5], s[4:5], 3
	v_dual_mov_b32 v4, v0 :: v_dual_lshlrev_b32 v3, 3, v0
	s_wait_kmcnt 0x0
	s_lshl_b64 s[22:23], s[22:23], 3
	s_mul_i32 s25, s24, s25
	s_cmp_lt_i32 s24, 1
	s_add_nc_u64 s[4:5], s[20:21], s[4:5]
	s_cselect_b32 s25, s25, 0
	s_add_nc_u64 s[4:5], s[4:5], s[22:23]
	v_mad_u32 v2, v0, s24, s25
	s_lshl_b32 s20, s24, 6
.LBB5_2:                                ; =>This Inner Loop Header: Depth=1
	global_load_b64 v[6:7], v2, s[4:5] scale_offset
	s_wait_xcnt 0x0
	v_dual_add_nc_u32 v4, 64, v4 :: v_dual_add_nc_u32 v2, s20, v2
	s_delay_alu instid0(VALU_DEP_1)
	v_cmp_le_i32_e32 vcc_lo, s13, v4
	s_or_b32 s18, vcc_lo, s18
	s_wait_loadcnt 0x0
	ds_store_b64 v3, v[6:7]
	v_add_nc_u32_e32 v3, 0x200, v3
	s_and_not1_b32 exec_lo, exec_lo, s18
	s_cbranch_execnz .LBB5_2
.LBB5_3:
	s_or_b32 exec_lo, exec_lo, s19
	s_bfe_u32 s4, ttmp6, 0x40010
	s_bfe_u32 s5, ttmp6, 0x40004
	s_add_co_i32 s4, s4, 1
	s_wait_dscnt 0x0
	s_mul_i32 s4, ttmp7, s4
	s_barrier_signal -1
	s_add_co_i32 s5, s5, s4
	s_cmp_eq_u32 s3, 0
	s_barrier_wait -1
	s_cselect_b32 s4, ttmp7, s5
	s_delay_alu instid0(SALU_CYCLE_1)
	s_cmp_ge_i32 s4, s12
	s_cbranch_scc1 .LBB5_23
; %bb.4:
	s_clause 0x1
	s_load_b64 s[18:19], s[0:1], 0x50
	s_load_b32 s5, s[0:1], 0x48
	s_mul_u64 s[8:9], s[8:9], s[14:15]
	v_dual_lshrrev_b32 v3, 2, v0 :: v_dual_bitop2_b32 v2, 31, v0 bitop3:0x40
	v_mbcnt_lo_u32_b32 v8, -1, 0
	s_lshl_b64 s[20:21], s[8:9], 3
	s_lshl_b64 s[16:17], s[16:17], 3
	s_wait_xcnt 0x0
	v_cmp_eq_u32_e64 s0, 0, v0
	v_cmp_eq_u32_e64 s1, 0, v2
	v_lshl_or_b32 v9, v8, 2, 64
	v_or_b32_e32 v11, 0x4000, v3
	v_mov_b32_e32 v12, 0
	s_add_nc_u64 s[6:7], s[6:7], s[20:21]
	s_wait_kmcnt 0x0
	s_mul_u64 s[8:9], s[18:19], s[14:15]
	v_mul_lo_u32 v10, v0, s5
	s_lshl_b64 s[8:9], s[8:9], 3
	s_cmp_gt_i32 s13, 1
	s_add_nc_u64 s[8:9], s[10:11], s[8:9]
	s_cselect_b32 s3, -1, 0
	s_add_nc_u64 s[8:9], s[8:9], s[16:17]
	s_lshl_b32 s14, s5, 6
	s_branch .LBB5_6
.LBB5_5:                                ;   in Loop: Header=BB5_6 Depth=1
	s_or_b32 exec_lo, exec_lo, s5
	s_add_co_i32 s4, s4, 64
	s_delay_alu instid0(SALU_CYCLE_1)
	s_cmp_ge_i32 s4, s12
	s_cbranch_scc1 .LBB5_23
.LBB5_6:                                ; =>This Loop Header: Depth=1
                                        ;     Child Loop BB5_8 Depth 2
                                        ;     Child Loop BB5_22 Depth 2
	v_mov_b64_e32 v[2:3], 0
	s_ashr_i32 s5, s4, 31
	s_delay_alu instid0(SALU_CYCLE_1) | instskip(NEXT) | instid1(SALU_CYCLE_1)
	s_lshl_b64 s[10:11], s[4:5], 3
	s_add_nc_u64 s[10:11], s[8:9], s[10:11]
	s_and_saveexec_b32 s5, s2
	s_cbranch_execz .LBB5_10
; %bb.7:                                ;   in Loop: Header=BB5_6 Depth=1
	v_dual_mov_b32 v2, 0 :: v_dual_mov_b32 v4, v10
	v_dual_mov_b32 v5, v1 :: v_dual_mov_b32 v6, v0
	s_mov_b32 s15, 0
	s_delay_alu instid0(VALU_DEP_2)
	v_mov_b32_e32 v3, v2
.LBB5_8:                                ;   Parent Loop BB5_6 Depth=1
                                        ; =>  This Inner Loop Header: Depth=2
	global_load_b64 v[14:15], v4, s[10:11] scale_offset
	ds_load_b64 v[16:17], v5
	v_add_nc_u32_e32 v5, 0x200, v5
	s_wait_xcnt 0x0
	v_add_nc_u32_e32 v4, s14, v4
	s_wait_loadcnt_dscnt 0x0
	v_pk_mul_f32 v[18:19], v[14:15], v[16:17] op_sel:[1,1] op_sel_hi:[0,1]
	s_delay_alu instid0(VALU_DEP_1) | instskip(SKIP_2) | instid1(VALU_DEP_3)
	v_pk_fma_f32 v[20:21], v[14:15], v[16:17], v[18:19] op_sel_hi:[1,0,1]
	v_add_nc_u32_e32 v6, 64, v6
	v_pk_fma_f32 v[14:15], v[14:15], v[16:17], v[18:19] neg_lo:[0,0,1] neg_hi:[0,0,1]
	v_mov_b32_e32 v15, v21
	s_delay_alu instid0(VALU_DEP_3) | instskip(NEXT) | instid1(VALU_DEP_2)
	v_cmp_le_i32_e32 vcc_lo, s13, v6
	v_pk_add_f32 v[2:3], v[2:3], v[14:15]
	s_or_b32 s15, vcc_lo, s15
	s_delay_alu instid0(SALU_CYCLE_1)
	s_and_not1_b32 exec_lo, exec_lo, s15
	s_cbranch_execnz .LBB5_8
; %bb.9:                                ;   in Loop: Header=BB5_6 Depth=1
	s_or_b32 exec_lo, exec_lo, s15
.LBB5_10:                               ;   in Loop: Header=BB5_6 Depth=1
	s_delay_alu instid0(SALU_CYCLE_1) | instskip(NEXT) | instid1(SALU_CYCLE_1)
	s_or_b32 exec_lo, exec_lo, s5
	s_and_b32 vcc_lo, exec_lo, s3
	s_cbranch_vccz .LBB5_17
; %bb.11:                               ;   in Loop: Header=BB5_6 Depth=1
	v_cmp_ne_u32_e32 vcc_lo, 31, v8
	v_add_co_ci_u32_e64 v4, null, 0, v8, vcc_lo
	v_cmp_gt_u32_e32 vcc_lo, 30, v8
	s_delay_alu instid0(VALU_DEP_2)
	v_lshlrev_b32_e32 v5, 2, v4
	v_cndmask_b32_e64 v6, 0, 2, vcc_lo
	v_cmp_gt_u32_e32 vcc_lo, 28, v8
	ds_bpermute_b32 v4, v5, v2
	ds_bpermute_b32 v5, v5, v3
	v_add_lshl_u32 v7, v6, v8, 2
	v_cndmask_b32_e64 v13, 0, 4, vcc_lo
	v_cmp_gt_u32_e32 vcc_lo, 24, v8
	s_delay_alu instid0(VALU_DEP_2)
	v_add_lshl_u32 v13, v13, v8, 2
	s_wait_dscnt 0x0
	v_pk_add_f32 v[4:5], v[2:3], v[4:5]
	ds_bpermute_b32 v6, v7, v4
	ds_bpermute_b32 v7, v7, v5
	s_wait_dscnt 0x0
	v_pk_add_f32 v[4:5], v[4:5], v[6:7]
	ds_bpermute_b32 v6, v13, v4
	ds_bpermute_b32 v7, v13, v5
	v_cndmask_b32_e64 v13, 0, 8, vcc_lo
	s_delay_alu instid0(VALU_DEP_1)
	v_add_lshl_u32 v13, v13, v8, 2
	s_wait_dscnt 0x0
	v_pk_add_f32 v[4:5], v[4:5], v[6:7]
	ds_bpermute_b32 v6, v13, v4
	ds_bpermute_b32 v7, v13, v5
	s_wait_dscnt 0x0
	v_pk_add_f32 v[4:5], v[4:5], v[6:7]
	ds_bpermute_b32 v6, v9, v4
	ds_bpermute_b32 v7, v9, v5
	s_wait_dscnt 0x0
	v_pk_add_f32 v[6:7], v[4:5], v[6:7]
	s_and_saveexec_b32 s5, s1
; %bb.12:                               ;   in Loop: Header=BB5_6 Depth=1
	ds_store_2addr_b32 v11, v6, v7 offset1:1
; %bb.13:                               ;   in Loop: Header=BB5_6 Depth=1
	s_or_b32 exec_lo, exec_lo, s5
	s_mov_b32 s15, 0
	s_mov_b32 s5, 0
	s_wait_dscnt 0x0
	s_barrier_signal -1
	s_barrier_wait -1
                                        ; implicit-def: $vgpr4_vgpr5
	s_and_saveexec_b32 s16, s0
	s_delay_alu instid0(SALU_CYCLE_1)
	s_xor_b32 s16, exec_lo, s16
	s_cbranch_execz .LBB5_15
; %bb.14:                               ;   in Loop: Header=BB5_6 Depth=1
	ds_load_b64 v[4:5], v12 offset:16392
	s_mov_b32 s5, exec_lo
	s_wait_dscnt 0x0
	v_pk_add_f32 v[4:5], v[6:7], v[4:5]
.LBB5_15:                               ;   in Loop: Header=BB5_6 Depth=1
	s_or_b32 exec_lo, exec_lo, s16
	s_delay_alu instid0(SALU_CYCLE_1)
	s_and_b32 vcc_lo, exec_lo, s15
	s_cbranch_vccnz .LBB5_18
.LBB5_16:                               ;   in Loop: Header=BB5_6 Depth=1
	s_delay_alu instid0(VALU_DEP_1)
	v_mov_b64_e32 v[2:3], v[4:5]
	s_and_saveexec_b32 s15, s5
	s_cbranch_execnz .LBB5_19
	s_branch .LBB5_20
.LBB5_17:                               ;   in Loop: Header=BB5_6 Depth=1
	s_mov_b32 s5, 0
                                        ; implicit-def: $vgpr4_vgpr5
	s_cbranch_execz .LBB5_16
.LBB5_18:                               ;   in Loop: Header=BB5_6 Depth=1
	s_and_not1_b32 s5, s5, exec_lo
	s_and_b32 s15, s0, exec_lo
	s_delay_alu instid0(SALU_CYCLE_1) | instskip(NEXT) | instid1(SALU_CYCLE_1)
	s_or_b32 s5, s5, s15
	s_and_saveexec_b32 s15, s5
.LBB5_19:                               ;   in Loop: Header=BB5_6 Depth=1
	ds_store_b64 v12, v[2:3] offset:16384
.LBB5_20:                               ;   in Loop: Header=BB5_6 Depth=1
	s_or_b32 exec_lo, exec_lo, s15
	s_wait_dscnt 0x0
	s_barrier_signal -1
	s_barrier_wait -1
	s_and_saveexec_b32 s5, s2
	s_cbranch_execz .LBB5_5
; %bb.21:                               ;   in Loop: Header=BB5_6 Depth=1
	global_load_b64 v[2:3], v12, s[6:7]
	ds_load_b64 v[6:7], v12 offset:16384
	s_mov_b32 s15, 0
	s_wait_loadcnt_dscnt 0x0
	v_dual_mul_f32 v4, v2, v7 :: v_dual_mul_f32 v5, v2, v6
	v_xor_b32_e32 v13, 0x80000000, v3
	s_delay_alu instid0(VALU_DEP_2) | instskip(NEXT) | instid1(VALU_DEP_3)
	v_xor_b32_e32 v2, 0x80000000, v4
	v_xor_b32_e32 v4, 0x80000000, v5
	s_delay_alu instid0(VALU_DEP_1) | instskip(SKIP_1) | instid1(VALU_DEP_2)
	v_dual_fmac_f32 v2, v6, v13 :: v_dual_fmac_f32 v4, v3, v7
	v_dual_mov_b32 v6, v1 :: v_dual_mov_b32 v7, v10
	v_dual_mov_b32 v13, v0 :: v_dual_mov_b32 v3, v2
	s_delay_alu instid0(VALU_DEP_3)
	v_mov_b32_e32 v5, v4
.LBB5_22:                               ;   Parent Loop BB5_6 Depth=1
                                        ; =>  This Inner Loop Header: Depth=2
	global_load_b64 v[14:15], v7, s[10:11] scale_offset
	ds_load_b64 v[16:17], v6
	v_add_nc_u32_e32 v6, 0x200, v6
	v_add_nc_u32_e32 v13, 64, v13
	s_delay_alu instid0(VALU_DEP_1) | instskip(SKIP_3) | instid1(VALU_DEP_1)
	v_cmp_le_i32_e32 vcc_lo, s13, v13
	s_or_b32 s15, vcc_lo, s15
	s_wait_dscnt 0x0
	v_pk_mul_f32 v[18:19], v[4:5], v[16:17]
	v_pk_fma_f32 v[20:21], v[2:3], v[16:17], v[18:19] op_sel:[0,1,0] op_sel_hi:[1,0,1] neg_lo:[0,0,1] neg_hi:[0,0,1]
	v_pk_fma_f32 v[16:17], v[2:3], v[16:17], v[18:19] op_sel:[0,1,0] op_sel_hi:[1,0,1]
	s_delay_alu instid0(VALU_DEP_2) | instskip(SKIP_1) | instid1(VALU_DEP_1)
	v_mov_b32_e32 v17, v21
	s_wait_loadcnt 0x0
	v_pk_add_f32 v[14:15], v[14:15], v[16:17]
	global_store_b64 v7, v[14:15], s[10:11] scale_offset
	s_wait_xcnt 0x0
	v_add_nc_u32_e32 v7, s14, v7
	s_and_not1_b32 exec_lo, exec_lo, s15
	s_cbranch_execnz .LBB5_22
	s_branch .LBB5_5
.LBB5_23:
	s_endpgm
	.section	.rodata,"a",@progbits
	.p2align	6, 0x0
	.amdhsa_kernel _ZN9rocsolver6v33100L23larf_right_kernel_smallILi64E19rocblas_complex_numIfEiPS3_EEvT1_S5_T2_lS5_lPKT0_lS6_lS5_l
		.amdhsa_group_segment_fixed_size 16400
		.amdhsa_private_segment_fixed_size 0
		.amdhsa_kernarg_size 88
		.amdhsa_user_sgpr_count 2
		.amdhsa_user_sgpr_dispatch_ptr 0
		.amdhsa_user_sgpr_queue_ptr 0
		.amdhsa_user_sgpr_kernarg_segment_ptr 1
		.amdhsa_user_sgpr_dispatch_id 0
		.amdhsa_user_sgpr_kernarg_preload_length 0
		.amdhsa_user_sgpr_kernarg_preload_offset 0
		.amdhsa_user_sgpr_private_segment_size 0
		.amdhsa_wavefront_size32 1
		.amdhsa_uses_dynamic_stack 0
		.amdhsa_enable_private_segment 0
		.amdhsa_system_sgpr_workgroup_id_x 1
		.amdhsa_system_sgpr_workgroup_id_y 1
		.amdhsa_system_sgpr_workgroup_id_z 0
		.amdhsa_system_sgpr_workgroup_info 0
		.amdhsa_system_vgpr_workitem_id 0
		.amdhsa_next_free_vgpr 113
		.amdhsa_next_free_sgpr 26
		.amdhsa_named_barrier_count 0
		.amdhsa_reserve_vcc 1
		.amdhsa_float_round_mode_32 0
		.amdhsa_float_round_mode_16_64 0
		.amdhsa_float_denorm_mode_32 3
		.amdhsa_float_denorm_mode_16_64 3
		.amdhsa_fp16_overflow 0
		.amdhsa_memory_ordered 1
		.amdhsa_forward_progress 1
		.amdhsa_inst_pref_size 11
		.amdhsa_round_robin_scheduling 0
		.amdhsa_exception_fp_ieee_invalid_op 0
		.amdhsa_exception_fp_denorm_src 0
		.amdhsa_exception_fp_ieee_div_zero 0
		.amdhsa_exception_fp_ieee_overflow 0
		.amdhsa_exception_fp_ieee_underflow 0
		.amdhsa_exception_fp_ieee_inexact 0
		.amdhsa_exception_int_div_zero 0
	.end_amdhsa_kernel
	.section	.text._ZN9rocsolver6v33100L23larf_right_kernel_smallILi64E19rocblas_complex_numIfEiPS3_EEvT1_S5_T2_lS5_lPKT0_lS6_lS5_l,"axG",@progbits,_ZN9rocsolver6v33100L23larf_right_kernel_smallILi64E19rocblas_complex_numIfEiPS3_EEvT1_S5_T2_lS5_lPKT0_lS6_lS5_l,comdat
.Lfunc_end5:
	.size	_ZN9rocsolver6v33100L23larf_right_kernel_smallILi64E19rocblas_complex_numIfEiPS3_EEvT1_S5_T2_lS5_lPKT0_lS6_lS5_l, .Lfunc_end5-_ZN9rocsolver6v33100L23larf_right_kernel_smallILi64E19rocblas_complex_numIfEiPS3_EEvT1_S5_T2_lS5_lPKT0_lS6_lS5_l
                                        ; -- End function
	.set _ZN9rocsolver6v33100L23larf_right_kernel_smallILi64E19rocblas_complex_numIfEiPS3_EEvT1_S5_T2_lS5_lPKT0_lS6_lS5_l.num_vgpr, 22
	.set _ZN9rocsolver6v33100L23larf_right_kernel_smallILi64E19rocblas_complex_numIfEiPS3_EEvT1_S5_T2_lS5_lPKT0_lS6_lS5_l.num_agpr, 0
	.set _ZN9rocsolver6v33100L23larf_right_kernel_smallILi64E19rocblas_complex_numIfEiPS3_EEvT1_S5_T2_lS5_lPKT0_lS6_lS5_l.numbered_sgpr, 26
	.set _ZN9rocsolver6v33100L23larf_right_kernel_smallILi64E19rocblas_complex_numIfEiPS3_EEvT1_S5_T2_lS5_lPKT0_lS6_lS5_l.num_named_barrier, 0
	.set _ZN9rocsolver6v33100L23larf_right_kernel_smallILi64E19rocblas_complex_numIfEiPS3_EEvT1_S5_T2_lS5_lPKT0_lS6_lS5_l.private_seg_size, 0
	.set _ZN9rocsolver6v33100L23larf_right_kernel_smallILi64E19rocblas_complex_numIfEiPS3_EEvT1_S5_T2_lS5_lPKT0_lS6_lS5_l.uses_vcc, 1
	.set _ZN9rocsolver6v33100L23larf_right_kernel_smallILi64E19rocblas_complex_numIfEiPS3_EEvT1_S5_T2_lS5_lPKT0_lS6_lS5_l.uses_flat_scratch, 0
	.set _ZN9rocsolver6v33100L23larf_right_kernel_smallILi64E19rocblas_complex_numIfEiPS3_EEvT1_S5_T2_lS5_lPKT0_lS6_lS5_l.has_dyn_sized_stack, 0
	.set _ZN9rocsolver6v33100L23larf_right_kernel_smallILi64E19rocblas_complex_numIfEiPS3_EEvT1_S5_T2_lS5_lPKT0_lS6_lS5_l.has_recursion, 0
	.set _ZN9rocsolver6v33100L23larf_right_kernel_smallILi64E19rocblas_complex_numIfEiPS3_EEvT1_S5_T2_lS5_lPKT0_lS6_lS5_l.has_indirect_call, 0
	.section	.AMDGPU.csdata,"",@progbits
; Kernel info:
; codeLenInByte = 1296
; TotalNumSgprs: 28
; NumVgprs: 22
; ScratchSize: 0
; MemoryBound: 0
; FloatMode: 240
; IeeeMode: 1
; LDSByteSize: 16400 bytes/workgroup (compile time only)
; SGPRBlocks: 0
; VGPRBlocks: 7
; NumSGPRsForWavesPerEU: 28
; NumVGPRsForWavesPerEU: 113
; NamedBarCnt: 0
; Occupancy: 8
; WaveLimiterHint : 0
; COMPUTE_PGM_RSRC2:SCRATCH_EN: 0
; COMPUTE_PGM_RSRC2:USER_SGPR: 2
; COMPUTE_PGM_RSRC2:TRAP_HANDLER: 0
; COMPUTE_PGM_RSRC2:TGID_X_EN: 1
; COMPUTE_PGM_RSRC2:TGID_Y_EN: 1
; COMPUTE_PGM_RSRC2:TGID_Z_EN: 0
; COMPUTE_PGM_RSRC2:TIDIG_COMP_CNT: 0
	.section	.text._ZN9rocsolver6v33100L23larf_right_kernel_smallILi128E19rocblas_complex_numIfEiPS3_EEvT1_S5_T2_lS5_lPKT0_lS6_lS5_l,"axG",@progbits,_ZN9rocsolver6v33100L23larf_right_kernel_smallILi128E19rocblas_complex_numIfEiPS3_EEvT1_S5_T2_lS5_lPKT0_lS6_lS5_l,comdat
	.globl	_ZN9rocsolver6v33100L23larf_right_kernel_smallILi128E19rocblas_complex_numIfEiPS3_EEvT1_S5_T2_lS5_lPKT0_lS6_lS5_l ; -- Begin function _ZN9rocsolver6v33100L23larf_right_kernel_smallILi128E19rocblas_complex_numIfEiPS3_EEvT1_S5_T2_lS5_lPKT0_lS6_lS5_l
	.p2align	8
	.type	_ZN9rocsolver6v33100L23larf_right_kernel_smallILi128E19rocblas_complex_numIfEiPS3_EEvT1_S5_T2_lS5_lPKT0_lS6_lS5_l,@function
_ZN9rocsolver6v33100L23larf_right_kernel_smallILi128E19rocblas_complex_numIfEiPS3_EEvT1_S5_T2_lS5_lPKT0_lS6_lS5_l: ; @_ZN9rocsolver6v33100L23larf_right_kernel_smallILi128E19rocblas_complex_numIfEiPS3_EEvT1_S5_T2_lS5_lPKT0_lS6_lS5_l
; %bb.0:
	s_clause 0x2
	s_load_b64 s[12:13], s[0:1], 0x0
	s_load_b256 s[4:11], s[0:1], 0x20
	s_load_b64 s[16:17], s[0:1], 0x40
	s_bfe_u32 s2, ttmp6, 0x4000c
	s_and_b32 s14, ttmp6, 15
	s_add_co_i32 s2, s2, 1
	s_getreg_b32 s3, hwreg(HW_REG_IB_STS2, 6, 4)
	s_mul_i32 s2, ttmp9, s2
	v_lshlrev_b32_e32 v1, 3, v0
	s_add_co_i32 s14, s14, s2
	s_cmp_eq_u32 s3, 0
	s_mov_b32 s18, 0
	s_cselect_b32 s14, ttmp9, s14
	s_delay_alu instid0(SALU_CYCLE_1)
	s_ashr_i32 s15, s14, 31
	s_wait_kmcnt 0x0
	v_cmp_gt_i32_e64 s2, s13, v0
	s_and_saveexec_b32 s19, s2
	s_cbranch_execz .LBB6_3
; %bb.1:
	s_clause 0x1
	s_load_b128 s[20:23], s[0:1], 0x8
	s_load_b32 s24, s[0:1], 0x18
	s_mul_u64 s[4:5], s[4:5], s[14:15]
	s_sub_co_i32 s25, 1, s13
	s_lshl_b64 s[4:5], s[4:5], 3
	v_dual_mov_b32 v4, v0 :: v_dual_lshlrev_b32 v3, 3, v0
	s_wait_kmcnt 0x0
	s_lshl_b64 s[22:23], s[22:23], 3
	s_mul_i32 s25, s24, s25
	s_cmp_lt_i32 s24, 1
	s_add_nc_u64 s[4:5], s[20:21], s[4:5]
	s_cselect_b32 s25, s25, 0
	s_add_nc_u64 s[4:5], s[4:5], s[22:23]
	v_mad_u32 v2, v0, s24, s25
	s_lshl_b32 s20, s24, 7
.LBB6_2:                                ; =>This Inner Loop Header: Depth=1
	global_load_b64 v[6:7], v2, s[4:5] scale_offset
	v_add_nc_u32_e32 v4, 0x80, v4
	s_wait_xcnt 0x0
	v_add_nc_u32_e32 v2, s20, v2
	s_delay_alu instid0(VALU_DEP_2)
	v_cmp_le_i32_e32 vcc_lo, s13, v4
	s_or_b32 s18, vcc_lo, s18
	s_wait_loadcnt 0x0
	ds_store_b64 v3, v[6:7]
	v_add_nc_u32_e32 v3, 0x400, v3
	s_and_not1_b32 exec_lo, exec_lo, s18
	s_cbranch_execnz .LBB6_2
.LBB6_3:
	s_or_b32 exec_lo, exec_lo, s19
	s_bfe_u32 s4, ttmp6, 0x40010
	s_bfe_u32 s5, ttmp6, 0x40004
	s_add_co_i32 s4, s4, 1
	s_wait_dscnt 0x0
	s_mul_i32 s4, ttmp7, s4
	s_barrier_signal -1
	s_add_co_i32 s5, s5, s4
	s_cmp_eq_u32 s3, 0
	s_barrier_wait -1
	s_cselect_b32 s4, ttmp7, s5
	s_delay_alu instid0(SALU_CYCLE_1)
	s_cmp_ge_i32 s4, s12
	s_cbranch_scc1 .LBB6_23
; %bb.4:
	s_clause 0x1
	s_load_b64 s[18:19], s[0:1], 0x50
	s_load_b32 s5, s[0:1], 0x48
	s_mul_u64 s[8:9], s[8:9], s[14:15]
	v_dual_lshrrev_b32 v3, 2, v0 :: v_dual_bitop2_b32 v2, 31, v0 bitop3:0x40
	v_mbcnt_lo_u32_b32 v8, -1, 0
	s_lshl_b64 s[20:21], s[8:9], 3
	s_lshl_b64 s[16:17], s[16:17], 3
	s_wait_xcnt 0x0
	v_cmp_eq_u32_e64 s0, 0, v0
	v_mov_b32_e32 v9, 0x4008
	v_cmp_eq_u32_e64 s1, 0, v2
	v_lshl_or_b32 v10, v8, 2, 64
	v_or_b32_e32 v12, 0x4000, v3
	v_mov_b32_e32 v13, 0
	s_add_nc_u64 s[6:7], s[6:7], s[20:21]
	s_wait_kmcnt 0x0
	s_mul_u64 s[8:9], s[18:19], s[14:15]
	v_mul_lo_u32 v11, v0, s5
	s_lshl_b64 s[8:9], s[8:9], 3
	s_cmp_gt_i32 s13, 1
	s_add_nc_u64 s[8:9], s[10:11], s[8:9]
	s_cselect_b32 s3, -1, 0
	s_add_nc_u64 s[8:9], s[8:9], s[16:17]
	s_lshl_b32 s14, s5, 7
	s_branch .LBB6_6
.LBB6_5:                                ;   in Loop: Header=BB6_6 Depth=1
	s_or_b32 exec_lo, exec_lo, s5
	s_add_co_i32 s4, s4, 64
	s_delay_alu instid0(SALU_CYCLE_1)
	s_cmp_ge_i32 s4, s12
	s_cbranch_scc1 .LBB6_23
.LBB6_6:                                ; =>This Loop Header: Depth=1
                                        ;     Child Loop BB6_8 Depth 2
                                        ;     Child Loop BB6_22 Depth 2
	v_mov_b64_e32 v[2:3], 0
	s_ashr_i32 s5, s4, 31
	s_delay_alu instid0(SALU_CYCLE_1) | instskip(NEXT) | instid1(SALU_CYCLE_1)
	s_lshl_b64 s[10:11], s[4:5], 3
	s_add_nc_u64 s[10:11], s[8:9], s[10:11]
	s_and_saveexec_b32 s5, s2
	s_cbranch_execz .LBB6_10
; %bb.7:                                ;   in Loop: Header=BB6_6 Depth=1
	v_dual_mov_b32 v3, 0 :: v_dual_mov_b32 v4, v11
	v_dual_mov_b32 v5, v1 :: v_dual_mov_b32 v6, v0
	s_mov_b32 s15, 0
	s_delay_alu instid0(VALU_DEP_2)
	v_mov_b32_e32 v2, v3
.LBB6_8:                                ;   Parent Loop BB6_6 Depth=1
                                        ; =>  This Inner Loop Header: Depth=2
	global_load_b64 v[14:15], v4, s[10:11] scale_offset
	ds_load_b64 v[16:17], v5
	v_add_nc_u32_e32 v5, 0x400, v5
	s_wait_loadcnt_dscnt 0x0
	s_wait_xcnt 0x0
	v_dual_mul_f32 v7, v15, v17 :: v_dual_add_nc_u32 v4, s14, v4
	v_dual_mul_f32 v19, v14, v17 :: v_dual_add_nc_u32 v6, 0x80, v6
	s_delay_alu instid0(VALU_DEP_2) | instskip(NEXT) | instid1(VALU_DEP_2)
	v_fma_f32 v18, v14, v16, -v7
	v_fmac_f32_e32 v19, v15, v16
	s_delay_alu instid0(VALU_DEP_3) | instskip(NEXT) | instid1(VALU_DEP_2)
	v_cmp_le_i32_e32 vcc_lo, s13, v6
	v_pk_add_f32 v[2:3], v[2:3], v[18:19]
	s_or_b32 s15, vcc_lo, s15
	s_delay_alu instid0(SALU_CYCLE_1)
	s_and_not1_b32 exec_lo, exec_lo, s15
	s_cbranch_execnz .LBB6_8
; %bb.9:                                ;   in Loop: Header=BB6_6 Depth=1
	s_or_b32 exec_lo, exec_lo, s15
.LBB6_10:                               ;   in Loop: Header=BB6_6 Depth=1
	s_delay_alu instid0(SALU_CYCLE_1) | instskip(NEXT) | instid1(SALU_CYCLE_1)
	s_or_b32 exec_lo, exec_lo, s5
	s_and_b32 vcc_lo, exec_lo, s3
	s_cbranch_vccz .LBB6_17
; %bb.11:                               ;   in Loop: Header=BB6_6 Depth=1
	v_cmp_ne_u32_e32 vcc_lo, 31, v8
	v_add_co_ci_u32_e64 v4, null, 0, v8, vcc_lo
	v_cmp_gt_u32_e32 vcc_lo, 30, v8
	s_delay_alu instid0(VALU_DEP_2)
	v_lshlrev_b32_e32 v5, 2, v4
	v_cndmask_b32_e64 v6, 0, 2, vcc_lo
	v_cmp_gt_u32_e32 vcc_lo, 28, v8
	ds_bpermute_b32 v4, v5, v2
	ds_bpermute_b32 v5, v5, v3
	v_add_lshl_u32 v7, v6, v8, 2
	v_cndmask_b32_e64 v14, 0, 4, vcc_lo
	v_cmp_gt_u32_e32 vcc_lo, 24, v8
	s_delay_alu instid0(VALU_DEP_2)
	v_add_lshl_u32 v14, v14, v8, 2
	s_wait_dscnt 0x0
	v_pk_add_f32 v[4:5], v[2:3], v[4:5]
	ds_bpermute_b32 v6, v7, v4
	ds_bpermute_b32 v7, v7, v5
	s_wait_dscnt 0x0
	v_pk_add_f32 v[4:5], v[4:5], v[6:7]
	ds_bpermute_b32 v6, v14, v4
	ds_bpermute_b32 v7, v14, v5
	v_cndmask_b32_e64 v14, 0, 8, vcc_lo
	s_delay_alu instid0(VALU_DEP_1)
	v_add_lshl_u32 v14, v14, v8, 2
	s_wait_dscnt 0x0
	v_pk_add_f32 v[4:5], v[4:5], v[6:7]
	ds_bpermute_b32 v6, v14, v4
	ds_bpermute_b32 v7, v14, v5
	s_wait_dscnt 0x0
	v_pk_add_f32 v[4:5], v[4:5], v[6:7]
	ds_bpermute_b32 v6, v10, v4
	ds_bpermute_b32 v7, v10, v5
	s_wait_dscnt 0x0
	v_pk_add_f32 v[4:5], v[4:5], v[6:7]
	s_and_saveexec_b32 s5, s1
; %bb.12:                               ;   in Loop: Header=BB6_6 Depth=1
	ds_store_2addr_b32 v12, v4, v5 offset1:1
; %bb.13:                               ;   in Loop: Header=BB6_6 Depth=1
	s_or_b32 exec_lo, exec_lo, s5
	s_mov_b32 s15, 0
	s_mov_b32 s5, 0
	s_wait_dscnt 0x0
	s_barrier_signal -1
	s_barrier_wait -1
                                        ; implicit-def: $vgpr6_vgpr7
	s_and_saveexec_b32 s16, s0
	s_delay_alu instid0(SALU_CYCLE_1)
	s_xor_b32 s16, exec_lo, s16
	s_cbranch_execz .LBB6_15
; %bb.14:                               ;   in Loop: Header=BB6_6 Depth=1
	ds_load_2addr_b64 v[14:17], v9 offset1:1
	ds_load_b64 v[6:7], v13 offset:16408
	s_mov_b32 s5, exec_lo
	s_wait_dscnt 0x1
	v_pk_add_f32 v[4:5], v[4:5], v[14:15]
	s_delay_alu instid0(VALU_DEP_1) | instskip(SKIP_1) | instid1(VALU_DEP_1)
	v_pk_add_f32 v[4:5], v[4:5], v[16:17]
	s_wait_dscnt 0x0
	v_pk_add_f32 v[6:7], v[4:5], v[6:7]
.LBB6_15:                               ;   in Loop: Header=BB6_6 Depth=1
	s_or_b32 exec_lo, exec_lo, s16
	s_delay_alu instid0(SALU_CYCLE_1)
	s_and_b32 vcc_lo, exec_lo, s15
	s_cbranch_vccnz .LBB6_18
.LBB6_16:                               ;   in Loop: Header=BB6_6 Depth=1
	s_delay_alu instid0(VALU_DEP_1)
	v_mov_b64_e32 v[2:3], v[6:7]
	s_and_saveexec_b32 s15, s5
	s_cbranch_execnz .LBB6_19
	s_branch .LBB6_20
.LBB6_17:                               ;   in Loop: Header=BB6_6 Depth=1
	s_mov_b32 s5, 0
                                        ; implicit-def: $vgpr6_vgpr7
	s_cbranch_execz .LBB6_16
.LBB6_18:                               ;   in Loop: Header=BB6_6 Depth=1
	s_and_not1_b32 s5, s5, exec_lo
	s_and_b32 s15, s0, exec_lo
	s_delay_alu instid0(SALU_CYCLE_1) | instskip(NEXT) | instid1(SALU_CYCLE_1)
	s_or_b32 s5, s5, s15
	s_and_saveexec_b32 s15, s5
.LBB6_19:                               ;   in Loop: Header=BB6_6 Depth=1
	ds_store_b64 v13, v[2:3] offset:16384
.LBB6_20:                               ;   in Loop: Header=BB6_6 Depth=1
	s_or_b32 exec_lo, exec_lo, s15
	s_wait_dscnt 0x0
	s_barrier_signal -1
	s_barrier_wait -1
	s_and_saveexec_b32 s5, s2
	s_cbranch_execz .LBB6_5
; %bb.21:                               ;   in Loop: Header=BB6_6 Depth=1
	global_load_b64 v[2:3], v13, s[6:7]
	ds_load_b64 v[6:7], v13 offset:16384
	s_mov_b32 s15, 0
	s_wait_loadcnt_dscnt 0x0
	v_dual_mul_f32 v4, v2, v7 :: v_dual_mul_f32 v5, v2, v6
	v_xor_b32_e32 v14, 0x80000000, v3
	s_delay_alu instid0(VALU_DEP_2) | instskip(NEXT) | instid1(VALU_DEP_3)
	v_xor_b32_e32 v2, 0x80000000, v4
	v_xor_b32_e32 v4, 0x80000000, v5
	s_delay_alu instid0(VALU_DEP_1) | instskip(SKIP_1) | instid1(VALU_DEP_2)
	v_dual_fmac_f32 v2, v6, v14 :: v_dual_fmac_f32 v4, v3, v7
	v_dual_mov_b32 v6, v1 :: v_dual_mov_b32 v7, v11
	v_dual_mov_b32 v14, v0 :: v_dual_mov_b32 v3, v2
	s_delay_alu instid0(VALU_DEP_3)
	v_mov_b32_e32 v5, v4
.LBB6_22:                               ;   Parent Loop BB6_6 Depth=1
                                        ; =>  This Inner Loop Header: Depth=2
	global_load_b64 v[16:17], v7, s[10:11] scale_offset
	ds_load_b64 v[18:19], v6
	v_add_nc_u32_e32 v6, 0x400, v6
	v_add_nc_u32_e32 v14, 0x80, v14
	s_delay_alu instid0(VALU_DEP_1) | instskip(SKIP_3) | instid1(VALU_DEP_1)
	v_cmp_le_i32_e32 vcc_lo, s13, v14
	s_or_b32 s15, vcc_lo, s15
	s_wait_dscnt 0x0
	v_pk_mul_f32 v[20:21], v[4:5], v[18:19]
	v_pk_fma_f32 v[22:23], v[2:3], v[18:19], v[20:21] op_sel:[0,1,0] op_sel_hi:[1,0,1] neg_lo:[0,0,1] neg_hi:[0,0,1]
	v_pk_fma_f32 v[18:19], v[2:3], v[18:19], v[20:21] op_sel:[0,1,0] op_sel_hi:[1,0,1]
	s_delay_alu instid0(VALU_DEP_2) | instskip(SKIP_1) | instid1(VALU_DEP_1)
	v_mov_b32_e32 v19, v23
	s_wait_loadcnt 0x0
	v_pk_add_f32 v[16:17], v[16:17], v[18:19]
	global_store_b64 v7, v[16:17], s[10:11] scale_offset
	s_wait_xcnt 0x0
	v_add_nc_u32_e32 v7, s14, v7
	s_and_not1_b32 exec_lo, exec_lo, s15
	s_cbranch_execnz .LBB6_22
	s_branch .LBB6_5
.LBB6_23:
	s_endpgm
	.section	.rodata,"a",@progbits
	.p2align	6, 0x0
	.amdhsa_kernel _ZN9rocsolver6v33100L23larf_right_kernel_smallILi128E19rocblas_complex_numIfEiPS3_EEvT1_S5_T2_lS5_lPKT0_lS6_lS5_l
		.amdhsa_group_segment_fixed_size 16416
		.amdhsa_private_segment_fixed_size 0
		.amdhsa_kernarg_size 88
		.amdhsa_user_sgpr_count 2
		.amdhsa_user_sgpr_dispatch_ptr 0
		.amdhsa_user_sgpr_queue_ptr 0
		.amdhsa_user_sgpr_kernarg_segment_ptr 1
		.amdhsa_user_sgpr_dispatch_id 0
		.amdhsa_user_sgpr_kernarg_preload_length 0
		.amdhsa_user_sgpr_kernarg_preload_offset 0
		.amdhsa_user_sgpr_private_segment_size 0
		.amdhsa_wavefront_size32 1
		.amdhsa_uses_dynamic_stack 0
		.amdhsa_enable_private_segment 0
		.amdhsa_system_sgpr_workgroup_id_x 1
		.amdhsa_system_sgpr_workgroup_id_y 1
		.amdhsa_system_sgpr_workgroup_id_z 0
		.amdhsa_system_sgpr_workgroup_info 0
		.amdhsa_system_vgpr_workitem_id 0
		.amdhsa_next_free_vgpr 24
		.amdhsa_next_free_sgpr 26
		.amdhsa_named_barrier_count 0
		.amdhsa_reserve_vcc 1
		.amdhsa_float_round_mode_32 0
		.amdhsa_float_round_mode_16_64 0
		.amdhsa_float_denorm_mode_32 3
		.amdhsa_float_denorm_mode_16_64 3
		.amdhsa_fp16_overflow 0
		.amdhsa_memory_ordered 1
		.amdhsa_forward_progress 1
		.amdhsa_inst_pref_size 11
		.amdhsa_round_robin_scheduling 0
		.amdhsa_exception_fp_ieee_invalid_op 0
		.amdhsa_exception_fp_denorm_src 0
		.amdhsa_exception_fp_ieee_div_zero 0
		.amdhsa_exception_fp_ieee_overflow 0
		.amdhsa_exception_fp_ieee_underflow 0
		.amdhsa_exception_fp_ieee_inexact 0
		.amdhsa_exception_int_div_zero 0
	.end_amdhsa_kernel
	.section	.text._ZN9rocsolver6v33100L23larf_right_kernel_smallILi128E19rocblas_complex_numIfEiPS3_EEvT1_S5_T2_lS5_lPKT0_lS6_lS5_l,"axG",@progbits,_ZN9rocsolver6v33100L23larf_right_kernel_smallILi128E19rocblas_complex_numIfEiPS3_EEvT1_S5_T2_lS5_lPKT0_lS6_lS5_l,comdat
.Lfunc_end6:
	.size	_ZN9rocsolver6v33100L23larf_right_kernel_smallILi128E19rocblas_complex_numIfEiPS3_EEvT1_S5_T2_lS5_lPKT0_lS6_lS5_l, .Lfunc_end6-_ZN9rocsolver6v33100L23larf_right_kernel_smallILi128E19rocblas_complex_numIfEiPS3_EEvT1_S5_T2_lS5_lPKT0_lS6_lS5_l
                                        ; -- End function
	.set _ZN9rocsolver6v33100L23larf_right_kernel_smallILi128E19rocblas_complex_numIfEiPS3_EEvT1_S5_T2_lS5_lPKT0_lS6_lS5_l.num_vgpr, 24
	.set _ZN9rocsolver6v33100L23larf_right_kernel_smallILi128E19rocblas_complex_numIfEiPS3_EEvT1_S5_T2_lS5_lPKT0_lS6_lS5_l.num_agpr, 0
	.set _ZN9rocsolver6v33100L23larf_right_kernel_smallILi128E19rocblas_complex_numIfEiPS3_EEvT1_S5_T2_lS5_lPKT0_lS6_lS5_l.numbered_sgpr, 26
	.set _ZN9rocsolver6v33100L23larf_right_kernel_smallILi128E19rocblas_complex_numIfEiPS3_EEvT1_S5_T2_lS5_lPKT0_lS6_lS5_l.num_named_barrier, 0
	.set _ZN9rocsolver6v33100L23larf_right_kernel_smallILi128E19rocblas_complex_numIfEiPS3_EEvT1_S5_T2_lS5_lPKT0_lS6_lS5_l.private_seg_size, 0
	.set _ZN9rocsolver6v33100L23larf_right_kernel_smallILi128E19rocblas_complex_numIfEiPS3_EEvT1_S5_T2_lS5_lPKT0_lS6_lS5_l.uses_vcc, 1
	.set _ZN9rocsolver6v33100L23larf_right_kernel_smallILi128E19rocblas_complex_numIfEiPS3_EEvT1_S5_T2_lS5_lPKT0_lS6_lS5_l.uses_flat_scratch, 0
	.set _ZN9rocsolver6v33100L23larf_right_kernel_smallILi128E19rocblas_complex_numIfEiPS3_EEvT1_S5_T2_lS5_lPKT0_lS6_lS5_l.has_dyn_sized_stack, 0
	.set _ZN9rocsolver6v33100L23larf_right_kernel_smallILi128E19rocblas_complex_numIfEiPS3_EEvT1_S5_T2_lS5_lPKT0_lS6_lS5_l.has_recursion, 0
	.set _ZN9rocsolver6v33100L23larf_right_kernel_smallILi128E19rocblas_complex_numIfEiPS3_EEvT1_S5_T2_lS5_lPKT0_lS6_lS5_l.has_indirect_call, 0
	.section	.AMDGPU.csdata,"",@progbits
; Kernel info:
; codeLenInByte = 1328
; TotalNumSgprs: 28
; NumVgprs: 24
; ScratchSize: 0
; MemoryBound: 0
; FloatMode: 240
; IeeeMode: 1
; LDSByteSize: 16416 bytes/workgroup (compile time only)
; SGPRBlocks: 0
; VGPRBlocks: 1
; NumSGPRsForWavesPerEU: 28
; NumVGPRsForWavesPerEU: 24
; NamedBarCnt: 0
; Occupancy: 16
; WaveLimiterHint : 0
; COMPUTE_PGM_RSRC2:SCRATCH_EN: 0
; COMPUTE_PGM_RSRC2:USER_SGPR: 2
; COMPUTE_PGM_RSRC2:TRAP_HANDLER: 0
; COMPUTE_PGM_RSRC2:TGID_X_EN: 1
; COMPUTE_PGM_RSRC2:TGID_Y_EN: 1
; COMPUTE_PGM_RSRC2:TGID_Z_EN: 0
; COMPUTE_PGM_RSRC2:TIDIG_COMP_CNT: 0
	.section	.text._ZN9rocsolver6v33100L23larf_right_kernel_smallILi256E19rocblas_complex_numIfEiPS3_EEvT1_S5_T2_lS5_lPKT0_lS6_lS5_l,"axG",@progbits,_ZN9rocsolver6v33100L23larf_right_kernel_smallILi256E19rocblas_complex_numIfEiPS3_EEvT1_S5_T2_lS5_lPKT0_lS6_lS5_l,comdat
	.globl	_ZN9rocsolver6v33100L23larf_right_kernel_smallILi256E19rocblas_complex_numIfEiPS3_EEvT1_S5_T2_lS5_lPKT0_lS6_lS5_l ; -- Begin function _ZN9rocsolver6v33100L23larf_right_kernel_smallILi256E19rocblas_complex_numIfEiPS3_EEvT1_S5_T2_lS5_lPKT0_lS6_lS5_l
	.p2align	8
	.type	_ZN9rocsolver6v33100L23larf_right_kernel_smallILi256E19rocblas_complex_numIfEiPS3_EEvT1_S5_T2_lS5_lPKT0_lS6_lS5_l,@function
_ZN9rocsolver6v33100L23larf_right_kernel_smallILi256E19rocblas_complex_numIfEiPS3_EEvT1_S5_T2_lS5_lPKT0_lS6_lS5_l: ; @_ZN9rocsolver6v33100L23larf_right_kernel_smallILi256E19rocblas_complex_numIfEiPS3_EEvT1_S5_T2_lS5_lPKT0_lS6_lS5_l
; %bb.0:
	s_clause 0x2
	s_load_b64 s[12:13], s[0:1], 0x0
	s_load_b256 s[4:11], s[0:1], 0x20
	s_load_b64 s[16:17], s[0:1], 0x40
	s_bfe_u32 s2, ttmp6, 0x4000c
	s_and_b32 s14, ttmp6, 15
	s_add_co_i32 s2, s2, 1
	s_getreg_b32 s3, hwreg(HW_REG_IB_STS2, 6, 4)
	s_mul_i32 s2, ttmp9, s2
	v_lshlrev_b32_e32 v1, 3, v0
	s_add_co_i32 s14, s14, s2
	s_cmp_eq_u32 s3, 0
	s_mov_b32 s18, 0
	s_cselect_b32 s14, ttmp9, s14
	s_delay_alu instid0(SALU_CYCLE_1)
	s_ashr_i32 s15, s14, 31
	s_wait_kmcnt 0x0
	v_cmp_gt_i32_e64 s2, s13, v0
	s_and_saveexec_b32 s19, s2
	s_cbranch_execz .LBB7_3
; %bb.1:
	s_clause 0x1
	s_load_b128 s[20:23], s[0:1], 0x8
	s_load_b32 s24, s[0:1], 0x18
	s_mul_u64 s[4:5], s[4:5], s[14:15]
	s_sub_co_i32 s25, 1, s13
	s_lshl_b64 s[4:5], s[4:5], 3
	v_dual_mov_b32 v4, v0 :: v_dual_lshlrev_b32 v3, 3, v0
	s_wait_kmcnt 0x0
	s_lshl_b64 s[22:23], s[22:23], 3
	s_mul_i32 s25, s24, s25
	s_cmp_lt_i32 s24, 1
	s_add_nc_u64 s[4:5], s[20:21], s[4:5]
	s_cselect_b32 s25, s25, 0
	s_add_nc_u64 s[4:5], s[4:5], s[22:23]
	v_mad_u32 v2, v0, s24, s25
	s_lshl_b32 s20, s24, 8
.LBB7_2:                                ; =>This Inner Loop Header: Depth=1
	global_load_b64 v[6:7], v2, s[4:5] scale_offset
	v_add_nc_u32_e32 v4, 0x100, v4
	s_wait_xcnt 0x0
	v_add_nc_u32_e32 v2, s20, v2
	s_delay_alu instid0(VALU_DEP_2)
	v_cmp_le_i32_e32 vcc_lo, s13, v4
	s_or_b32 s18, vcc_lo, s18
	s_wait_loadcnt 0x0
	ds_store_b64 v3, v[6:7]
	v_add_nc_u32_e32 v3, 0x800, v3
	s_and_not1_b32 exec_lo, exec_lo, s18
	s_cbranch_execnz .LBB7_2
.LBB7_3:
	s_or_b32 exec_lo, exec_lo, s19
	s_bfe_u32 s4, ttmp6, 0x40010
	s_bfe_u32 s5, ttmp6, 0x40004
	s_add_co_i32 s4, s4, 1
	s_wait_dscnt 0x0
	s_mul_i32 s4, ttmp7, s4
	s_barrier_signal -1
	s_add_co_i32 s5, s5, s4
	s_cmp_eq_u32 s3, 0
	s_barrier_wait -1
	s_cselect_b32 s4, ttmp7, s5
	s_delay_alu instid0(SALU_CYCLE_1)
	s_cmp_ge_i32 s4, s12
	s_cbranch_scc1 .LBB7_23
; %bb.4:
	s_clause 0x1
	s_load_b64 s[18:19], s[0:1], 0x50
	s_load_b32 s5, s[0:1], 0x48
	s_mul_u64 s[8:9], s[8:9], s[14:15]
	v_dual_lshrrev_b32 v3, 2, v0 :: v_dual_bitop2_b32 v2, 31, v0 bitop3:0x40
	v_mbcnt_lo_u32_b32 v8, -1, 0
	s_lshl_b64 s[20:21], s[8:9], 3
	s_lshl_b64 s[16:17], s[16:17], 3
	s_wait_xcnt 0x0
	v_cmp_eq_u32_e64 s0, 0, v0
	v_mov_b32_e32 v9, 0x4008
	v_dual_mov_b32 v10, 0x4018 :: v_dual_mov_b32 v15, 0
	v_mov_b32_e32 v11, 0x4028
	v_cmp_eq_u32_e64 s1, 0, v2
	v_lshl_or_b32 v12, v8, 2, 64
	v_or_b32_e32 v14, 0x4000, v3
	s_add_nc_u64 s[6:7], s[6:7], s[20:21]
	s_wait_kmcnt 0x0
	s_mul_u64 s[8:9], s[18:19], s[14:15]
	v_mul_lo_u32 v13, v0, s5
	s_lshl_b64 s[8:9], s[8:9], 3
	s_cmp_gt_i32 s13, 1
	s_add_nc_u64 s[8:9], s[10:11], s[8:9]
	s_cselect_b32 s3, -1, 0
	s_add_nc_u64 s[8:9], s[8:9], s[16:17]
	s_lshl_b32 s14, s5, 8
	s_branch .LBB7_6
.LBB7_5:                                ;   in Loop: Header=BB7_6 Depth=1
	s_or_b32 exec_lo, exec_lo, s5
	s_add_co_i32 s4, s4, 64
	s_delay_alu instid0(SALU_CYCLE_1)
	s_cmp_ge_i32 s4, s12
	s_cbranch_scc1 .LBB7_23
.LBB7_6:                                ; =>This Loop Header: Depth=1
                                        ;     Child Loop BB7_8 Depth 2
                                        ;     Child Loop BB7_22 Depth 2
	v_mov_b64_e32 v[2:3], 0
	s_ashr_i32 s5, s4, 31
	s_delay_alu instid0(SALU_CYCLE_1) | instskip(NEXT) | instid1(SALU_CYCLE_1)
	s_lshl_b64 s[10:11], s[4:5], 3
	s_add_nc_u64 s[10:11], s[8:9], s[10:11]
	s_and_saveexec_b32 s5, s2
	s_cbranch_execz .LBB7_10
; %bb.7:                                ;   in Loop: Header=BB7_6 Depth=1
	v_dual_mov_b32 v2, 0 :: v_dual_mov_b32 v4, v13
	v_dual_mov_b32 v5, v1 :: v_dual_mov_b32 v6, v0
	s_mov_b32 s15, 0
	s_delay_alu instid0(VALU_DEP_2)
	v_mov_b32_e32 v3, v2
.LBB7_8:                                ;   Parent Loop BB7_6 Depth=1
                                        ; =>  This Inner Loop Header: Depth=2
	global_load_b64 v[16:17], v4, s[10:11] scale_offset
	ds_load_b64 v[18:19], v5
	v_add_nc_u32_e32 v5, 0x800, v5
	s_wait_xcnt 0x0
	v_add_nc_u32_e32 v4, s14, v4
	s_wait_loadcnt_dscnt 0x0
	v_pk_mul_f32 v[20:21], v[16:17], v[18:19] op_sel:[1,1] op_sel_hi:[0,1]
	s_delay_alu instid0(VALU_DEP_1) | instskip(SKIP_2) | instid1(VALU_DEP_3)
	v_pk_fma_f32 v[22:23], v[16:17], v[18:19], v[20:21] op_sel_hi:[1,0,1]
	v_add_nc_u32_e32 v6, 0x100, v6
	v_pk_fma_f32 v[16:17], v[16:17], v[18:19], v[20:21] neg_lo:[0,0,1] neg_hi:[0,0,1]
	v_mov_b32_e32 v17, v23
	s_delay_alu instid0(VALU_DEP_3) | instskip(NEXT) | instid1(VALU_DEP_2)
	v_cmp_le_i32_e32 vcc_lo, s13, v6
	v_pk_add_f32 v[2:3], v[2:3], v[16:17]
	s_or_b32 s15, vcc_lo, s15
	s_delay_alu instid0(SALU_CYCLE_1)
	s_and_not1_b32 exec_lo, exec_lo, s15
	s_cbranch_execnz .LBB7_8
; %bb.9:                                ;   in Loop: Header=BB7_6 Depth=1
	s_or_b32 exec_lo, exec_lo, s15
.LBB7_10:                               ;   in Loop: Header=BB7_6 Depth=1
	s_delay_alu instid0(SALU_CYCLE_1) | instskip(NEXT) | instid1(SALU_CYCLE_1)
	s_or_b32 exec_lo, exec_lo, s5
	s_and_b32 vcc_lo, exec_lo, s3
	s_cbranch_vccz .LBB7_17
; %bb.11:                               ;   in Loop: Header=BB7_6 Depth=1
	v_cmp_ne_u32_e32 vcc_lo, 31, v8
	v_add_co_ci_u32_e64 v4, null, 0, v8, vcc_lo
	v_cmp_gt_u32_e32 vcc_lo, 30, v8
	s_delay_alu instid0(VALU_DEP_2)
	v_lshlrev_b32_e32 v5, 2, v4
	v_cndmask_b32_e64 v6, 0, 2, vcc_lo
	v_cmp_gt_u32_e32 vcc_lo, 28, v8
	ds_bpermute_b32 v4, v5, v2
	ds_bpermute_b32 v5, v5, v3
	v_add_lshl_u32 v7, v6, v8, 2
	v_cndmask_b32_e64 v16, 0, 4, vcc_lo
	v_cmp_gt_u32_e32 vcc_lo, 24, v8
	s_delay_alu instid0(VALU_DEP_2)
	v_add_lshl_u32 v16, v16, v8, 2
	s_wait_dscnt 0x0
	v_pk_add_f32 v[4:5], v[2:3], v[4:5]
	ds_bpermute_b32 v6, v7, v4
	ds_bpermute_b32 v7, v7, v5
	s_wait_dscnt 0x0
	v_pk_add_f32 v[4:5], v[4:5], v[6:7]
	ds_bpermute_b32 v6, v16, v4
	ds_bpermute_b32 v7, v16, v5
	v_cndmask_b32_e64 v16, 0, 8, vcc_lo
	s_delay_alu instid0(VALU_DEP_1)
	v_add_lshl_u32 v16, v16, v8, 2
	s_wait_dscnt 0x0
	v_pk_add_f32 v[4:5], v[4:5], v[6:7]
	ds_bpermute_b32 v6, v16, v4
	ds_bpermute_b32 v7, v16, v5
	s_wait_dscnt 0x0
	v_pk_add_f32 v[4:5], v[4:5], v[6:7]
	ds_bpermute_b32 v6, v12, v4
	ds_bpermute_b32 v7, v12, v5
	s_wait_dscnt 0x0
	v_pk_add_f32 v[4:5], v[4:5], v[6:7]
	s_and_saveexec_b32 s5, s1
; %bb.12:                               ;   in Loop: Header=BB7_6 Depth=1
	ds_store_2addr_b32 v14, v4, v5 offset1:1
; %bb.13:                               ;   in Loop: Header=BB7_6 Depth=1
	s_or_b32 exec_lo, exec_lo, s5
	s_mov_b32 s15, 0
	s_mov_b32 s5, 0
	s_wait_dscnt 0x0
	s_barrier_signal -1
	s_barrier_wait -1
                                        ; implicit-def: $vgpr6_vgpr7
	s_and_saveexec_b32 s16, s0
	s_delay_alu instid0(SALU_CYCLE_1)
	s_xor_b32 s16, exec_lo, s16
	s_cbranch_execz .LBB7_15
; %bb.14:                               ;   in Loop: Header=BB7_6 Depth=1
	ds_load_2addr_b64 v[16:19], v9 offset1:1
	ds_load_2addr_b64 v[20:23], v10 offset1:1
	s_mov_b32 s5, exec_lo
	s_wait_dscnt 0x1
	v_pk_add_f32 v[16:17], v[4:5], v[16:17]
	ds_load_2addr_b64 v[4:7], v11 offset1:1
	v_pk_add_f32 v[16:17], v[16:17], v[18:19]
	ds_load_b64 v[18:19], v15 offset:16440
	s_wait_dscnt 0x2
	v_pk_add_f32 v[16:17], v[16:17], v[20:21]
	s_delay_alu instid0(VALU_DEP_1) | instskip(SKIP_1) | instid1(VALU_DEP_1)
	v_pk_add_f32 v[16:17], v[16:17], v[22:23]
	s_wait_dscnt 0x1
	v_pk_add_f32 v[4:5], v[16:17], v[4:5]
	s_delay_alu instid0(VALU_DEP_1) | instskip(SKIP_1) | instid1(VALU_DEP_1)
	v_pk_add_f32 v[4:5], v[4:5], v[6:7]
	s_wait_dscnt 0x0
	v_pk_add_f32 v[6:7], v[4:5], v[18:19]
.LBB7_15:                               ;   in Loop: Header=BB7_6 Depth=1
	s_or_b32 exec_lo, exec_lo, s16
	s_delay_alu instid0(SALU_CYCLE_1)
	s_and_b32 vcc_lo, exec_lo, s15
	s_cbranch_vccnz .LBB7_18
.LBB7_16:                               ;   in Loop: Header=BB7_6 Depth=1
	s_delay_alu instid0(VALU_DEP_1)
	v_mov_b64_e32 v[2:3], v[6:7]
	s_and_saveexec_b32 s15, s5
	s_cbranch_execnz .LBB7_19
	s_branch .LBB7_20
.LBB7_17:                               ;   in Loop: Header=BB7_6 Depth=1
	s_mov_b32 s5, 0
                                        ; implicit-def: $vgpr6_vgpr7
	s_cbranch_execz .LBB7_16
.LBB7_18:                               ;   in Loop: Header=BB7_6 Depth=1
	s_and_not1_b32 s5, s5, exec_lo
	s_and_b32 s15, s0, exec_lo
	s_delay_alu instid0(SALU_CYCLE_1) | instskip(NEXT) | instid1(SALU_CYCLE_1)
	s_or_b32 s5, s5, s15
	s_and_saveexec_b32 s15, s5
.LBB7_19:                               ;   in Loop: Header=BB7_6 Depth=1
	ds_store_b64 v15, v[2:3] offset:16384
.LBB7_20:                               ;   in Loop: Header=BB7_6 Depth=1
	s_or_b32 exec_lo, exec_lo, s15
	s_wait_dscnt 0x0
	s_barrier_signal -1
	s_barrier_wait -1
	s_and_saveexec_b32 s5, s2
	s_cbranch_execz .LBB7_5
; %bb.21:                               ;   in Loop: Header=BB7_6 Depth=1
	global_load_b64 v[2:3], v15, s[6:7]
	ds_load_b64 v[6:7], v15 offset:16384
	s_mov_b32 s15, 0
	s_wait_loadcnt_dscnt 0x0
	v_dual_mul_f32 v4, v2, v7 :: v_dual_mul_f32 v5, v2, v6
	v_xor_b32_e32 v16, 0x80000000, v3
	s_delay_alu instid0(VALU_DEP_2) | instskip(NEXT) | instid1(VALU_DEP_3)
	v_xor_b32_e32 v2, 0x80000000, v4
	v_xor_b32_e32 v4, 0x80000000, v5
	s_delay_alu instid0(VALU_DEP_1) | instskip(SKIP_1) | instid1(VALU_DEP_2)
	v_dual_fmac_f32 v2, v6, v16 :: v_dual_fmac_f32 v4, v3, v7
	v_dual_mov_b32 v6, v1 :: v_dual_mov_b32 v7, v13
	v_dual_mov_b32 v16, v0 :: v_dual_mov_b32 v3, v2
	s_delay_alu instid0(VALU_DEP_3)
	v_mov_b32_e32 v5, v4
.LBB7_22:                               ;   Parent Loop BB7_6 Depth=1
                                        ; =>  This Inner Loop Header: Depth=2
	global_load_b64 v[18:19], v7, s[10:11] scale_offset
	ds_load_b64 v[20:21], v6
	v_add_nc_u32_e32 v6, 0x800, v6
	v_add_nc_u32_e32 v16, 0x100, v16
	s_delay_alu instid0(VALU_DEP_1) | instskip(SKIP_3) | instid1(VALU_DEP_1)
	v_cmp_le_i32_e32 vcc_lo, s13, v16
	s_or_b32 s15, vcc_lo, s15
	s_wait_dscnt 0x0
	v_pk_mul_f32 v[22:23], v[4:5], v[20:21]
	v_pk_fma_f32 v[24:25], v[2:3], v[20:21], v[22:23] op_sel:[0,1,0] op_sel_hi:[1,0,1] neg_lo:[0,0,1] neg_hi:[0,0,1]
	v_pk_fma_f32 v[20:21], v[2:3], v[20:21], v[22:23] op_sel:[0,1,0] op_sel_hi:[1,0,1]
	s_delay_alu instid0(VALU_DEP_2) | instskip(SKIP_1) | instid1(VALU_DEP_1)
	v_mov_b32_e32 v21, v25
	s_wait_loadcnt 0x0
	v_pk_add_f32 v[18:19], v[18:19], v[20:21]
	global_store_b64 v7, v[18:19], s[10:11] scale_offset
	s_wait_xcnt 0x0
	v_add_nc_u32_e32 v7, s14, v7
	s_and_not1_b32 exec_lo, exec_lo, s15
	s_cbranch_execnz .LBB7_22
	s_branch .LBB7_5
.LBB7_23:
	s_endpgm
	.section	.rodata,"a",@progbits
	.p2align	6, 0x0
	.amdhsa_kernel _ZN9rocsolver6v33100L23larf_right_kernel_smallILi256E19rocblas_complex_numIfEiPS3_EEvT1_S5_T2_lS5_lPKT0_lS6_lS5_l
		.amdhsa_group_segment_fixed_size 16448
		.amdhsa_private_segment_fixed_size 0
		.amdhsa_kernarg_size 88
		.amdhsa_user_sgpr_count 2
		.amdhsa_user_sgpr_dispatch_ptr 0
		.amdhsa_user_sgpr_queue_ptr 0
		.amdhsa_user_sgpr_kernarg_segment_ptr 1
		.amdhsa_user_sgpr_dispatch_id 0
		.amdhsa_user_sgpr_kernarg_preload_length 0
		.amdhsa_user_sgpr_kernarg_preload_offset 0
		.amdhsa_user_sgpr_private_segment_size 0
		.amdhsa_wavefront_size32 1
		.amdhsa_uses_dynamic_stack 0
		.amdhsa_enable_private_segment 0
		.amdhsa_system_sgpr_workgroup_id_x 1
		.amdhsa_system_sgpr_workgroup_id_y 1
		.amdhsa_system_sgpr_workgroup_id_z 0
		.amdhsa_system_sgpr_workgroup_info 0
		.amdhsa_system_vgpr_workitem_id 0
		.amdhsa_next_free_vgpr 26
		.amdhsa_next_free_sgpr 26
		.amdhsa_named_barrier_count 0
		.amdhsa_reserve_vcc 1
		.amdhsa_float_round_mode_32 0
		.amdhsa_float_round_mode_16_64 0
		.amdhsa_float_denorm_mode_32 3
		.amdhsa_float_denorm_mode_16_64 3
		.amdhsa_fp16_overflow 0
		.amdhsa_memory_ordered 1
		.amdhsa_forward_progress 1
		.amdhsa_inst_pref_size 12
		.amdhsa_round_robin_scheduling 0
		.amdhsa_exception_fp_ieee_invalid_op 0
		.amdhsa_exception_fp_denorm_src 0
		.amdhsa_exception_fp_ieee_div_zero 0
		.amdhsa_exception_fp_ieee_overflow 0
		.amdhsa_exception_fp_ieee_underflow 0
		.amdhsa_exception_fp_ieee_inexact 0
		.amdhsa_exception_int_div_zero 0
	.end_amdhsa_kernel
	.section	.text._ZN9rocsolver6v33100L23larf_right_kernel_smallILi256E19rocblas_complex_numIfEiPS3_EEvT1_S5_T2_lS5_lPKT0_lS6_lS5_l,"axG",@progbits,_ZN9rocsolver6v33100L23larf_right_kernel_smallILi256E19rocblas_complex_numIfEiPS3_EEvT1_S5_T2_lS5_lPKT0_lS6_lS5_l,comdat
.Lfunc_end7:
	.size	_ZN9rocsolver6v33100L23larf_right_kernel_smallILi256E19rocblas_complex_numIfEiPS3_EEvT1_S5_T2_lS5_lPKT0_lS6_lS5_l, .Lfunc_end7-_ZN9rocsolver6v33100L23larf_right_kernel_smallILi256E19rocblas_complex_numIfEiPS3_EEvT1_S5_T2_lS5_lPKT0_lS6_lS5_l
                                        ; -- End function
	.set _ZN9rocsolver6v33100L23larf_right_kernel_smallILi256E19rocblas_complex_numIfEiPS3_EEvT1_S5_T2_lS5_lPKT0_lS6_lS5_l.num_vgpr, 26
	.set _ZN9rocsolver6v33100L23larf_right_kernel_smallILi256E19rocblas_complex_numIfEiPS3_EEvT1_S5_T2_lS5_lPKT0_lS6_lS5_l.num_agpr, 0
	.set _ZN9rocsolver6v33100L23larf_right_kernel_smallILi256E19rocblas_complex_numIfEiPS3_EEvT1_S5_T2_lS5_lPKT0_lS6_lS5_l.numbered_sgpr, 26
	.set _ZN9rocsolver6v33100L23larf_right_kernel_smallILi256E19rocblas_complex_numIfEiPS3_EEvT1_S5_T2_lS5_lPKT0_lS6_lS5_l.num_named_barrier, 0
	.set _ZN9rocsolver6v33100L23larf_right_kernel_smallILi256E19rocblas_complex_numIfEiPS3_EEvT1_S5_T2_lS5_lPKT0_lS6_lS5_l.private_seg_size, 0
	.set _ZN9rocsolver6v33100L23larf_right_kernel_smallILi256E19rocblas_complex_numIfEiPS3_EEvT1_S5_T2_lS5_lPKT0_lS6_lS5_l.uses_vcc, 1
	.set _ZN9rocsolver6v33100L23larf_right_kernel_smallILi256E19rocblas_complex_numIfEiPS3_EEvT1_S5_T2_lS5_lPKT0_lS6_lS5_l.uses_flat_scratch, 0
	.set _ZN9rocsolver6v33100L23larf_right_kernel_smallILi256E19rocblas_complex_numIfEiPS3_EEvT1_S5_T2_lS5_lPKT0_lS6_lS5_l.has_dyn_sized_stack, 0
	.set _ZN9rocsolver6v33100L23larf_right_kernel_smallILi256E19rocblas_complex_numIfEiPS3_EEvT1_S5_T2_lS5_lPKT0_lS6_lS5_l.has_recursion, 0
	.set _ZN9rocsolver6v33100L23larf_right_kernel_smallILi256E19rocblas_complex_numIfEiPS3_EEvT1_S5_T2_lS5_lPKT0_lS6_lS5_l.has_indirect_call, 0
	.section	.AMDGPU.csdata,"",@progbits
; Kernel info:
; codeLenInByte = 1416
; TotalNumSgprs: 28
; NumVgprs: 26
; ScratchSize: 0
; MemoryBound: 0
; FloatMode: 240
; IeeeMode: 1
; LDSByteSize: 16448 bytes/workgroup (compile time only)
; SGPRBlocks: 0
; VGPRBlocks: 1
; NumSGPRsForWavesPerEU: 28
; NumVGPRsForWavesPerEU: 26
; NamedBarCnt: 0
; Occupancy: 16
; WaveLimiterHint : 0
; COMPUTE_PGM_RSRC2:SCRATCH_EN: 0
; COMPUTE_PGM_RSRC2:USER_SGPR: 2
; COMPUTE_PGM_RSRC2:TRAP_HANDLER: 0
; COMPUTE_PGM_RSRC2:TGID_X_EN: 1
; COMPUTE_PGM_RSRC2:TGID_Y_EN: 1
; COMPUTE_PGM_RSRC2:TGID_Z_EN: 0
; COMPUTE_PGM_RSRC2:TIDIG_COMP_CNT: 0
	.section	.text._ZN9rocsolver6v33100L23larf_right_kernel_smallILi512E19rocblas_complex_numIfEiPS3_EEvT1_S5_T2_lS5_lPKT0_lS6_lS5_l,"axG",@progbits,_ZN9rocsolver6v33100L23larf_right_kernel_smallILi512E19rocblas_complex_numIfEiPS3_EEvT1_S5_T2_lS5_lPKT0_lS6_lS5_l,comdat
	.globl	_ZN9rocsolver6v33100L23larf_right_kernel_smallILi512E19rocblas_complex_numIfEiPS3_EEvT1_S5_T2_lS5_lPKT0_lS6_lS5_l ; -- Begin function _ZN9rocsolver6v33100L23larf_right_kernel_smallILi512E19rocblas_complex_numIfEiPS3_EEvT1_S5_T2_lS5_lPKT0_lS6_lS5_l
	.p2align	8
	.type	_ZN9rocsolver6v33100L23larf_right_kernel_smallILi512E19rocblas_complex_numIfEiPS3_EEvT1_S5_T2_lS5_lPKT0_lS6_lS5_l,@function
_ZN9rocsolver6v33100L23larf_right_kernel_smallILi512E19rocblas_complex_numIfEiPS3_EEvT1_S5_T2_lS5_lPKT0_lS6_lS5_l: ; @_ZN9rocsolver6v33100L23larf_right_kernel_smallILi512E19rocblas_complex_numIfEiPS3_EEvT1_S5_T2_lS5_lPKT0_lS6_lS5_l
; %bb.0:
	s_clause 0x2
	s_load_b64 s[12:13], s[0:1], 0x0
	s_load_b256 s[4:11], s[0:1], 0x20
	s_load_b64 s[16:17], s[0:1], 0x40
	s_bfe_u32 s2, ttmp6, 0x4000c
	s_and_b32 s14, ttmp6, 15
	s_add_co_i32 s2, s2, 1
	s_getreg_b32 s3, hwreg(HW_REG_IB_STS2, 6, 4)
	s_mul_i32 s2, ttmp9, s2
	v_lshlrev_b32_e32 v1, 3, v0
	s_add_co_i32 s14, s14, s2
	s_cmp_eq_u32 s3, 0
	s_mov_b32 s18, 0
	s_cselect_b32 s14, ttmp9, s14
	s_delay_alu instid0(SALU_CYCLE_1)
	s_ashr_i32 s15, s14, 31
	s_wait_kmcnt 0x0
	v_cmp_gt_i32_e64 s2, s13, v0
	s_and_saveexec_b32 s19, s2
	s_cbranch_execz .LBB8_3
; %bb.1:
	s_clause 0x1
	s_load_b128 s[20:23], s[0:1], 0x8
	s_load_b32 s24, s[0:1], 0x18
	s_mul_u64 s[4:5], s[4:5], s[14:15]
	s_sub_co_i32 s25, 1, s13
	s_lshl_b64 s[4:5], s[4:5], 3
	v_dual_mov_b32 v4, v0 :: v_dual_lshlrev_b32 v3, 3, v0
	s_wait_kmcnt 0x0
	s_lshl_b64 s[22:23], s[22:23], 3
	s_mul_i32 s25, s24, s25
	s_cmp_lt_i32 s24, 1
	s_add_nc_u64 s[4:5], s[20:21], s[4:5]
	s_cselect_b32 s25, s25, 0
	s_add_nc_u64 s[4:5], s[4:5], s[22:23]
	v_mad_u32 v2, v0, s24, s25
	s_lshl_b32 s20, s24, 9
.LBB8_2:                                ; =>This Inner Loop Header: Depth=1
	global_load_b64 v[6:7], v2, s[4:5] scale_offset
	v_add_nc_u32_e32 v4, 0x200, v4
	s_wait_xcnt 0x0
	v_add_nc_u32_e32 v2, s20, v2
	s_delay_alu instid0(VALU_DEP_2)
	v_cmp_le_i32_e32 vcc_lo, s13, v4
	s_or_b32 s18, vcc_lo, s18
	s_wait_loadcnt 0x0
	ds_store_b64 v3, v[6:7]
	v_add_nc_u32_e32 v3, 0x1000, v3
	s_and_not1_b32 exec_lo, exec_lo, s18
	s_cbranch_execnz .LBB8_2
.LBB8_3:
	s_or_b32 exec_lo, exec_lo, s19
	s_bfe_u32 s4, ttmp6, 0x40010
	s_bfe_u32 s5, ttmp6, 0x40004
	s_add_co_i32 s4, s4, 1
	s_wait_dscnt 0x0
	s_mul_i32 s4, ttmp7, s4
	s_barrier_signal -1
	s_add_co_i32 s5, s5, s4
	s_cmp_eq_u32 s3, 0
	s_barrier_wait -1
	s_cselect_b32 s4, ttmp7, s5
	s_delay_alu instid0(SALU_CYCLE_1)
	s_cmp_ge_i32 s4, s12
	s_cbranch_scc1 .LBB8_23
; %bb.4:
	s_clause 0x1
	s_load_b64 s[18:19], s[0:1], 0x50
	s_load_b32 s5, s[0:1], 0x48
	s_mul_u64 s[8:9], s[8:9], s[14:15]
	v_dual_lshrrev_b32 v3, 2, v0 :: v_dual_bitop2_b32 v2, 31, v0 bitop3:0x40
	v_mbcnt_lo_u32_b32 v8, -1, 0
	s_lshl_b64 s[20:21], s[8:9], 3
	s_lshl_b64 s[16:17], s[16:17], 3
	s_wait_xcnt 0x0
	v_cmp_eq_u32_e64 s0, 0, v0
	v_mov_b32_e32 v9, 0x4008
	v_dual_mov_b32 v10, 0x4018 :: v_dual_mov_b32 v19, 0
	v_mov_b32_e32 v11, 0x4028
	v_mov_b32_e32 v12, 0x4038
	;; [unrolled: 1-line block ×5, first 2 shown]
	v_cmp_eq_u32_e64 s1, 0, v2
	v_lshl_or_b32 v16, v8, 2, 64
	v_or_b32_e32 v18, 0x4000, v3
	s_wait_kmcnt 0x0
	s_mul_u64 s[8:9], s[18:19], s[14:15]
	v_mul_lo_u32 v17, v0, s5
	s_lshl_b64 s[8:9], s[8:9], 3
	s_cmp_gt_i32 s13, 1
	s_add_nc_u64 s[8:9], s[10:11], s[8:9]
	s_add_nc_u64 s[6:7], s[6:7], s[20:21]
	;; [unrolled: 1-line block ×3, first 2 shown]
	s_cselect_b32 s3, -1, 0
	s_lshl_b32 s14, s5, 9
	s_branch .LBB8_6
.LBB8_5:                                ;   in Loop: Header=BB8_6 Depth=1
	s_or_b32 exec_lo, exec_lo, s5
	s_add_co_i32 s4, s4, 64
	s_delay_alu instid0(SALU_CYCLE_1)
	s_cmp_ge_i32 s4, s12
	s_cbranch_scc1 .LBB8_23
.LBB8_6:                                ; =>This Loop Header: Depth=1
                                        ;     Child Loop BB8_8 Depth 2
                                        ;     Child Loop BB8_22 Depth 2
	v_mov_b64_e32 v[2:3], 0
	s_ashr_i32 s5, s4, 31
	s_delay_alu instid0(SALU_CYCLE_1) | instskip(NEXT) | instid1(SALU_CYCLE_1)
	s_lshl_b64 s[10:11], s[4:5], 3
	s_add_nc_u64 s[10:11], s[8:9], s[10:11]
	s_and_saveexec_b32 s5, s2
	s_cbranch_execz .LBB8_10
; %bb.7:                                ;   in Loop: Header=BB8_6 Depth=1
	v_dual_mov_b32 v2, 0 :: v_dual_mov_b32 v4, v17
	v_dual_mov_b32 v5, v1 :: v_dual_mov_b32 v6, v0
	s_mov_b32 s15, 0
	s_delay_alu instid0(VALU_DEP_2)
	v_mov_b32_e32 v3, v2
.LBB8_8:                                ;   Parent Loop BB8_6 Depth=1
                                        ; =>  This Inner Loop Header: Depth=2
	global_load_b64 v[20:21], v4, s[10:11] scale_offset
	ds_load_b64 v[22:23], v5
	v_add_nc_u32_e32 v5, 0x1000, v5
	s_wait_xcnt 0x0
	v_add_nc_u32_e32 v4, s14, v4
	s_wait_loadcnt_dscnt 0x0
	v_pk_mul_f32 v[24:25], v[20:21], v[22:23] op_sel:[1,1] op_sel_hi:[0,1]
	s_delay_alu instid0(VALU_DEP_1) | instskip(SKIP_2) | instid1(VALU_DEP_3)
	v_pk_fma_f32 v[26:27], v[20:21], v[22:23], v[24:25] op_sel_hi:[1,0,1]
	v_add_nc_u32_e32 v6, 0x200, v6
	v_pk_fma_f32 v[20:21], v[20:21], v[22:23], v[24:25] neg_lo:[0,0,1] neg_hi:[0,0,1]
	v_mov_b32_e32 v21, v27
	s_delay_alu instid0(VALU_DEP_3) | instskip(NEXT) | instid1(VALU_DEP_2)
	v_cmp_le_i32_e32 vcc_lo, s13, v6
	v_pk_add_f32 v[2:3], v[2:3], v[20:21]
	s_or_b32 s15, vcc_lo, s15
	s_delay_alu instid0(SALU_CYCLE_1)
	s_and_not1_b32 exec_lo, exec_lo, s15
	s_cbranch_execnz .LBB8_8
; %bb.9:                                ;   in Loop: Header=BB8_6 Depth=1
	s_or_b32 exec_lo, exec_lo, s15
.LBB8_10:                               ;   in Loop: Header=BB8_6 Depth=1
	s_delay_alu instid0(SALU_CYCLE_1) | instskip(NEXT) | instid1(SALU_CYCLE_1)
	s_or_b32 exec_lo, exec_lo, s5
	s_and_b32 vcc_lo, exec_lo, s3
	s_cbranch_vccz .LBB8_17
; %bb.11:                               ;   in Loop: Header=BB8_6 Depth=1
	v_cmp_ne_u32_e32 vcc_lo, 31, v8
	v_add_co_ci_u32_e64 v4, null, 0, v8, vcc_lo
	v_cmp_gt_u32_e32 vcc_lo, 30, v8
	s_delay_alu instid0(VALU_DEP_2)
	v_lshlrev_b32_e32 v5, 2, v4
	v_cndmask_b32_e64 v6, 0, 2, vcc_lo
	v_cmp_gt_u32_e32 vcc_lo, 28, v8
	ds_bpermute_b32 v4, v5, v2
	ds_bpermute_b32 v5, v5, v3
	v_add_lshl_u32 v7, v6, v8, 2
	v_cndmask_b32_e64 v20, 0, 4, vcc_lo
	v_cmp_gt_u32_e32 vcc_lo, 24, v8
	s_delay_alu instid0(VALU_DEP_2)
	v_add_lshl_u32 v20, v20, v8, 2
	s_wait_dscnt 0x0
	v_pk_add_f32 v[4:5], v[2:3], v[4:5]
	ds_bpermute_b32 v6, v7, v4
	ds_bpermute_b32 v7, v7, v5
	s_wait_dscnt 0x0
	v_pk_add_f32 v[4:5], v[4:5], v[6:7]
	ds_bpermute_b32 v6, v20, v4
	ds_bpermute_b32 v7, v20, v5
	v_cndmask_b32_e64 v20, 0, 8, vcc_lo
	s_delay_alu instid0(VALU_DEP_1)
	v_add_lshl_u32 v20, v20, v8, 2
	s_wait_dscnt 0x0
	v_pk_add_f32 v[4:5], v[4:5], v[6:7]
	ds_bpermute_b32 v6, v20, v4
	ds_bpermute_b32 v7, v20, v5
	s_wait_dscnt 0x0
	v_pk_add_f32 v[4:5], v[4:5], v[6:7]
	ds_bpermute_b32 v6, v16, v4
	ds_bpermute_b32 v7, v16, v5
	s_wait_dscnt 0x0
	v_pk_add_f32 v[4:5], v[4:5], v[6:7]
	s_and_saveexec_b32 s5, s1
; %bb.12:                               ;   in Loop: Header=BB8_6 Depth=1
	ds_store_2addr_b32 v18, v4, v5 offset1:1
; %bb.13:                               ;   in Loop: Header=BB8_6 Depth=1
	s_or_b32 exec_lo, exec_lo, s5
	s_mov_b32 s15, 0
	s_mov_b32 s5, 0
	s_wait_dscnt 0x0
	s_barrier_signal -1
	s_barrier_wait -1
                                        ; implicit-def: $vgpr6_vgpr7
	s_and_saveexec_b32 s16, s0
	s_delay_alu instid0(SALU_CYCLE_1)
	s_xor_b32 s16, exec_lo, s16
	s_cbranch_execz .LBB8_15
; %bb.14:                               ;   in Loop: Header=BB8_6 Depth=1
	ds_load_2addr_b64 v[20:23], v9 offset1:1
	ds_load_2addr_b64 v[24:27], v10 offset1:1
	;; [unrolled: 1-line block ×3, first 2 shown]
	s_mov_b32 s5, exec_lo
	s_wait_dscnt 0x2
	v_pk_add_f32 v[4:5], v[4:5], v[20:21]
	s_delay_alu instid0(VALU_DEP_1) | instskip(SKIP_3) | instid1(VALU_DEP_1)
	v_pk_add_f32 v[20:21], v[4:5], v[22:23]
	ds_load_2addr_b64 v[4:7], v12 offset1:1
	s_wait_dscnt 0x2
	v_pk_add_f32 v[20:21], v[20:21], v[24:25]
	v_pk_add_f32 v[24:25], v[20:21], v[26:27]
	ds_load_2addr_b64 v[20:23], v13 offset1:1
	s_wait_dscnt 0x2
	v_pk_add_f32 v[24:25], v[24:25], v[28:29]
	s_delay_alu instid0(VALU_DEP_1) | instskip(SKIP_3) | instid1(VALU_DEP_1)
	v_pk_add_f32 v[28:29], v[24:25], v[30:31]
	ds_load_2addr_b64 v[24:27], v14 offset1:1
	s_wait_dscnt 0x2
	v_pk_add_f32 v[4:5], v[28:29], v[4:5]
	v_pk_add_f32 v[4:5], v[4:5], v[6:7]
	s_wait_dscnt 0x1
	s_delay_alu instid0(VALU_DEP_1)
	v_pk_add_f32 v[20:21], v[4:5], v[20:21]
	ds_load_2addr_b64 v[4:7], v15 offset1:1
	v_pk_add_f32 v[20:21], v[20:21], v[22:23]
	ds_load_b64 v[22:23], v19 offset:16504
	s_wait_dscnt 0x2
	v_pk_add_f32 v[20:21], v[20:21], v[24:25]
	s_delay_alu instid0(VALU_DEP_1) | instskip(SKIP_1) | instid1(VALU_DEP_1)
	v_pk_add_f32 v[20:21], v[20:21], v[26:27]
	s_wait_dscnt 0x1
	v_pk_add_f32 v[4:5], v[20:21], v[4:5]
	s_delay_alu instid0(VALU_DEP_1) | instskip(SKIP_1) | instid1(VALU_DEP_1)
	v_pk_add_f32 v[4:5], v[4:5], v[6:7]
	s_wait_dscnt 0x0
	v_pk_add_f32 v[6:7], v[4:5], v[22:23]
.LBB8_15:                               ;   in Loop: Header=BB8_6 Depth=1
	s_or_b32 exec_lo, exec_lo, s16
	s_delay_alu instid0(SALU_CYCLE_1)
	s_and_b32 vcc_lo, exec_lo, s15
	s_cbranch_vccnz .LBB8_18
.LBB8_16:                               ;   in Loop: Header=BB8_6 Depth=1
	s_delay_alu instid0(VALU_DEP_1)
	v_mov_b64_e32 v[2:3], v[6:7]
	s_and_saveexec_b32 s15, s5
	s_cbranch_execnz .LBB8_19
	s_branch .LBB8_20
.LBB8_17:                               ;   in Loop: Header=BB8_6 Depth=1
	s_mov_b32 s5, 0
                                        ; implicit-def: $vgpr6_vgpr7
	s_cbranch_execz .LBB8_16
.LBB8_18:                               ;   in Loop: Header=BB8_6 Depth=1
	s_and_not1_b32 s5, s5, exec_lo
	s_and_b32 s15, s0, exec_lo
	s_delay_alu instid0(SALU_CYCLE_1) | instskip(NEXT) | instid1(SALU_CYCLE_1)
	s_or_b32 s5, s5, s15
	s_and_saveexec_b32 s15, s5
.LBB8_19:                               ;   in Loop: Header=BB8_6 Depth=1
	ds_store_b64 v19, v[2:3] offset:16384
.LBB8_20:                               ;   in Loop: Header=BB8_6 Depth=1
	s_or_b32 exec_lo, exec_lo, s15
	s_wait_dscnt 0x0
	s_barrier_signal -1
	s_barrier_wait -1
	s_and_saveexec_b32 s5, s2
	s_cbranch_execz .LBB8_5
; %bb.21:                               ;   in Loop: Header=BB8_6 Depth=1
	global_load_b64 v[2:3], v19, s[6:7]
	ds_load_b64 v[6:7], v19 offset:16384
	s_mov_b32 s15, 0
	s_wait_loadcnt_dscnt 0x0
	v_dual_mul_f32 v4, v2, v7 :: v_dual_mul_f32 v5, v2, v6
	v_xor_b32_e32 v20, 0x80000000, v3
	s_delay_alu instid0(VALU_DEP_2) | instskip(NEXT) | instid1(VALU_DEP_3)
	v_xor_b32_e32 v2, 0x80000000, v4
	v_xor_b32_e32 v4, 0x80000000, v5
	s_delay_alu instid0(VALU_DEP_1) | instskip(SKIP_1) | instid1(VALU_DEP_2)
	v_dual_fmac_f32 v2, v6, v20 :: v_dual_fmac_f32 v4, v3, v7
	v_dual_mov_b32 v6, v1 :: v_dual_mov_b32 v7, v17
	v_dual_mov_b32 v20, v0 :: v_dual_mov_b32 v3, v2
	s_delay_alu instid0(VALU_DEP_3)
	v_mov_b32_e32 v5, v4
.LBB8_22:                               ;   Parent Loop BB8_6 Depth=1
                                        ; =>  This Inner Loop Header: Depth=2
	global_load_b64 v[22:23], v7, s[10:11] scale_offset
	ds_load_b64 v[24:25], v6
	v_add_nc_u32_e32 v6, 0x1000, v6
	v_add_nc_u32_e32 v20, 0x200, v20
	s_delay_alu instid0(VALU_DEP_1) | instskip(SKIP_3) | instid1(VALU_DEP_1)
	v_cmp_le_i32_e32 vcc_lo, s13, v20
	s_or_b32 s15, vcc_lo, s15
	s_wait_dscnt 0x0
	v_pk_mul_f32 v[26:27], v[4:5], v[24:25]
	v_pk_fma_f32 v[28:29], v[2:3], v[24:25], v[26:27] op_sel:[0,1,0] op_sel_hi:[1,0,1] neg_lo:[0,0,1] neg_hi:[0,0,1]
	v_pk_fma_f32 v[24:25], v[2:3], v[24:25], v[26:27] op_sel:[0,1,0] op_sel_hi:[1,0,1]
	s_delay_alu instid0(VALU_DEP_2) | instskip(SKIP_1) | instid1(VALU_DEP_1)
	v_mov_b32_e32 v25, v29
	s_wait_loadcnt 0x0
	v_pk_add_f32 v[22:23], v[22:23], v[24:25]
	global_store_b64 v7, v[22:23], s[10:11] scale_offset
	s_wait_xcnt 0x0
	v_add_nc_u32_e32 v7, s14, v7
	s_and_not1_b32 exec_lo, exec_lo, s15
	s_cbranch_execnz .LBB8_22
	s_branch .LBB8_5
.LBB8_23:
	s_endpgm
	.section	.rodata,"a",@progbits
	.p2align	6, 0x0
	.amdhsa_kernel _ZN9rocsolver6v33100L23larf_right_kernel_smallILi512E19rocblas_complex_numIfEiPS3_EEvT1_S5_T2_lS5_lPKT0_lS6_lS5_l
		.amdhsa_group_segment_fixed_size 16512
		.amdhsa_private_segment_fixed_size 0
		.amdhsa_kernarg_size 88
		.amdhsa_user_sgpr_count 2
		.amdhsa_user_sgpr_dispatch_ptr 0
		.amdhsa_user_sgpr_queue_ptr 0
		.amdhsa_user_sgpr_kernarg_segment_ptr 1
		.amdhsa_user_sgpr_dispatch_id 0
		.amdhsa_user_sgpr_kernarg_preload_length 0
		.amdhsa_user_sgpr_kernarg_preload_offset 0
		.amdhsa_user_sgpr_private_segment_size 0
		.amdhsa_wavefront_size32 1
		.amdhsa_uses_dynamic_stack 0
		.amdhsa_enable_private_segment 0
		.amdhsa_system_sgpr_workgroup_id_x 1
		.amdhsa_system_sgpr_workgroup_id_y 1
		.amdhsa_system_sgpr_workgroup_id_z 0
		.amdhsa_system_sgpr_workgroup_info 0
		.amdhsa_system_vgpr_workitem_id 0
		.amdhsa_next_free_vgpr 32
		.amdhsa_next_free_sgpr 26
		.amdhsa_named_barrier_count 0
		.amdhsa_reserve_vcc 1
		.amdhsa_float_round_mode_32 0
		.amdhsa_float_round_mode_16_64 0
		.amdhsa_float_denorm_mode_32 3
		.amdhsa_float_denorm_mode_16_64 3
		.amdhsa_fp16_overflow 0
		.amdhsa_memory_ordered 1
		.amdhsa_forward_progress 1
		.amdhsa_inst_pref_size 13
		.amdhsa_round_robin_scheduling 0
		.amdhsa_exception_fp_ieee_invalid_op 0
		.amdhsa_exception_fp_denorm_src 0
		.amdhsa_exception_fp_ieee_div_zero 0
		.amdhsa_exception_fp_ieee_overflow 0
		.amdhsa_exception_fp_ieee_underflow 0
		.amdhsa_exception_fp_ieee_inexact 0
		.amdhsa_exception_int_div_zero 0
	.end_amdhsa_kernel
	.section	.text._ZN9rocsolver6v33100L23larf_right_kernel_smallILi512E19rocblas_complex_numIfEiPS3_EEvT1_S5_T2_lS5_lPKT0_lS6_lS5_l,"axG",@progbits,_ZN9rocsolver6v33100L23larf_right_kernel_smallILi512E19rocblas_complex_numIfEiPS3_EEvT1_S5_T2_lS5_lPKT0_lS6_lS5_l,comdat
.Lfunc_end8:
	.size	_ZN9rocsolver6v33100L23larf_right_kernel_smallILi512E19rocblas_complex_numIfEiPS3_EEvT1_S5_T2_lS5_lPKT0_lS6_lS5_l, .Lfunc_end8-_ZN9rocsolver6v33100L23larf_right_kernel_smallILi512E19rocblas_complex_numIfEiPS3_EEvT1_S5_T2_lS5_lPKT0_lS6_lS5_l
                                        ; -- End function
	.set _ZN9rocsolver6v33100L23larf_right_kernel_smallILi512E19rocblas_complex_numIfEiPS3_EEvT1_S5_T2_lS5_lPKT0_lS6_lS5_l.num_vgpr, 32
	.set _ZN9rocsolver6v33100L23larf_right_kernel_smallILi512E19rocblas_complex_numIfEiPS3_EEvT1_S5_T2_lS5_lPKT0_lS6_lS5_l.num_agpr, 0
	.set _ZN9rocsolver6v33100L23larf_right_kernel_smallILi512E19rocblas_complex_numIfEiPS3_EEvT1_S5_T2_lS5_lPKT0_lS6_lS5_l.numbered_sgpr, 26
	.set _ZN9rocsolver6v33100L23larf_right_kernel_smallILi512E19rocblas_complex_numIfEiPS3_EEvT1_S5_T2_lS5_lPKT0_lS6_lS5_l.num_named_barrier, 0
	.set _ZN9rocsolver6v33100L23larf_right_kernel_smallILi512E19rocblas_complex_numIfEiPS3_EEvT1_S5_T2_lS5_lPKT0_lS6_lS5_l.private_seg_size, 0
	.set _ZN9rocsolver6v33100L23larf_right_kernel_smallILi512E19rocblas_complex_numIfEiPS3_EEvT1_S5_T2_lS5_lPKT0_lS6_lS5_l.uses_vcc, 1
	.set _ZN9rocsolver6v33100L23larf_right_kernel_smallILi512E19rocblas_complex_numIfEiPS3_EEvT1_S5_T2_lS5_lPKT0_lS6_lS5_l.uses_flat_scratch, 0
	.set _ZN9rocsolver6v33100L23larf_right_kernel_smallILi512E19rocblas_complex_numIfEiPS3_EEvT1_S5_T2_lS5_lPKT0_lS6_lS5_l.has_dyn_sized_stack, 0
	.set _ZN9rocsolver6v33100L23larf_right_kernel_smallILi512E19rocblas_complex_numIfEiPS3_EEvT1_S5_T2_lS5_lPKT0_lS6_lS5_l.has_recursion, 0
	.set _ZN9rocsolver6v33100L23larf_right_kernel_smallILi512E19rocblas_complex_numIfEiPS3_EEvT1_S5_T2_lS5_lPKT0_lS6_lS5_l.has_indirect_call, 0
	.section	.AMDGPU.csdata,"",@progbits
; Kernel info:
; codeLenInByte = 1572
; TotalNumSgprs: 28
; NumVgprs: 32
; ScratchSize: 0
; MemoryBound: 0
; FloatMode: 240
; IeeeMode: 1
; LDSByteSize: 16512 bytes/workgroup (compile time only)
; SGPRBlocks: 0
; VGPRBlocks: 1
; NumSGPRsForWavesPerEU: 28
; NumVGPRsForWavesPerEU: 32
; NamedBarCnt: 0
; Occupancy: 16
; WaveLimiterHint : 0
; COMPUTE_PGM_RSRC2:SCRATCH_EN: 0
; COMPUTE_PGM_RSRC2:USER_SGPR: 2
; COMPUTE_PGM_RSRC2:TRAP_HANDLER: 0
; COMPUTE_PGM_RSRC2:TGID_X_EN: 1
; COMPUTE_PGM_RSRC2:TGID_Y_EN: 1
; COMPUTE_PGM_RSRC2:TGID_Z_EN: 0
; COMPUTE_PGM_RSRC2:TIDIG_COMP_CNT: 0
	.section	.text._ZN9rocsolver6v33100L23larf_right_kernel_smallILi1024E19rocblas_complex_numIfEiPS3_EEvT1_S5_T2_lS5_lPKT0_lS6_lS5_l,"axG",@progbits,_ZN9rocsolver6v33100L23larf_right_kernel_smallILi1024E19rocblas_complex_numIfEiPS3_EEvT1_S5_T2_lS5_lPKT0_lS6_lS5_l,comdat
	.globl	_ZN9rocsolver6v33100L23larf_right_kernel_smallILi1024E19rocblas_complex_numIfEiPS3_EEvT1_S5_T2_lS5_lPKT0_lS6_lS5_l ; -- Begin function _ZN9rocsolver6v33100L23larf_right_kernel_smallILi1024E19rocblas_complex_numIfEiPS3_EEvT1_S5_T2_lS5_lPKT0_lS6_lS5_l
	.p2align	8
	.type	_ZN9rocsolver6v33100L23larf_right_kernel_smallILi1024E19rocblas_complex_numIfEiPS3_EEvT1_S5_T2_lS5_lPKT0_lS6_lS5_l,@function
_ZN9rocsolver6v33100L23larf_right_kernel_smallILi1024E19rocblas_complex_numIfEiPS3_EEvT1_S5_T2_lS5_lPKT0_lS6_lS5_l: ; @_ZN9rocsolver6v33100L23larf_right_kernel_smallILi1024E19rocblas_complex_numIfEiPS3_EEvT1_S5_T2_lS5_lPKT0_lS6_lS5_l
; %bb.0:
	s_clause 0x2
	s_load_b64 s[12:13], s[0:1], 0x0
	s_load_b256 s[4:11], s[0:1], 0x20
	s_load_b64 s[16:17], s[0:1], 0x40
	s_bfe_u32 s2, ttmp6, 0x4000c
	s_and_b32 s14, ttmp6, 15
	s_add_co_i32 s2, s2, 1
	s_getreg_b32 s3, hwreg(HW_REG_IB_STS2, 6, 4)
	s_mul_i32 s2, ttmp9, s2
	v_lshlrev_b32_e32 v1, 3, v0
	s_add_co_i32 s14, s14, s2
	s_cmp_eq_u32 s3, 0
	s_mov_b32 s18, 0
	s_cselect_b32 s14, ttmp9, s14
	s_delay_alu instid0(SALU_CYCLE_1)
	s_ashr_i32 s15, s14, 31
	s_wait_kmcnt 0x0
	v_cmp_gt_i32_e64 s2, s13, v0
	s_and_saveexec_b32 s19, s2
	s_cbranch_execz .LBB9_3
; %bb.1:
	s_clause 0x1
	s_load_b128 s[20:23], s[0:1], 0x8
	s_load_b32 s24, s[0:1], 0x18
	s_mul_u64 s[4:5], s[4:5], s[14:15]
	s_sub_co_i32 s25, 1, s13
	s_lshl_b64 s[4:5], s[4:5], 3
	v_dual_mov_b32 v4, v0 :: v_dual_lshlrev_b32 v3, 3, v0
	s_wait_kmcnt 0x0
	s_lshl_b64 s[22:23], s[22:23], 3
	s_mul_i32 s25, s24, s25
	s_cmp_lt_i32 s24, 1
	s_add_nc_u64 s[4:5], s[20:21], s[4:5]
	s_cselect_b32 s25, s25, 0
	s_add_nc_u64 s[4:5], s[4:5], s[22:23]
	v_mad_u32 v2, v0, s24, s25
	s_lshl_b32 s20, s24, 10
.LBB9_2:                                ; =>This Inner Loop Header: Depth=1
	global_load_b64 v[6:7], v2, s[4:5] scale_offset
	v_add_nc_u32_e32 v4, 0x400, v4
	s_wait_xcnt 0x0
	v_add_nc_u32_e32 v2, s20, v2
	s_delay_alu instid0(VALU_DEP_2)
	v_cmp_le_i32_e32 vcc_lo, s13, v4
	s_or_b32 s18, vcc_lo, s18
	s_wait_loadcnt 0x0
	ds_store_b64 v3, v[6:7]
	v_add_nc_u32_e32 v3, 0x2000, v3
	s_and_not1_b32 exec_lo, exec_lo, s18
	s_cbranch_execnz .LBB9_2
.LBB9_3:
	s_or_b32 exec_lo, exec_lo, s19
	s_bfe_u32 s4, ttmp6, 0x40010
	s_bfe_u32 s5, ttmp6, 0x40004
	s_add_co_i32 s4, s4, 1
	s_wait_dscnt 0x0
	s_mul_i32 s4, ttmp7, s4
	s_barrier_signal -1
	s_add_co_i32 s5, s5, s4
	s_cmp_eq_u32 s3, 0
	s_barrier_wait -1
	s_cselect_b32 s4, ttmp7, s5
	s_delay_alu instid0(SALU_CYCLE_1)
	s_cmp_ge_i32 s4, s12
	s_cbranch_scc1 .LBB9_23
; %bb.4:
	s_clause 0x1
	s_load_b64 s[18:19], s[0:1], 0x50
	s_load_b32 s5, s[0:1], 0x48
	s_mul_u64 s[8:9], s[8:9], s[14:15]
	v_dual_lshrrev_b32 v3, 2, v0 :: v_dual_bitop2_b32 v2, 31, v0 bitop3:0x40
	v_mbcnt_lo_u32_b32 v8, -1, 0
	s_lshl_b64 s[20:21], s[8:9], 3
	s_lshl_b64 s[16:17], s[16:17], 3
	s_wait_xcnt 0x0
	v_cmp_eq_u32_e64 s0, 0, v0
	v_mov_b32_e32 v9, 0x4008
	v_dual_mov_b32 v10, 0x4018 :: v_dual_mov_b32 v27, 0
	v_mov_b32_e32 v11, 0x4028
	v_mov_b32_e32 v12, 0x4038
	;; [unrolled: 1-line block ×7, first 2 shown]
	v_cmp_eq_u32_e64 s1, 0, v2
	s_wait_kmcnt 0x0
	s_mul_u64 s[8:9], s[18:19], s[14:15]
	v_mul_lo_u32 v20, v0, s5
	s_lshl_b64 s[8:9], s[8:9], 3
	v_lshl_or_b32 v18, v8, 2, 64
	v_or_b32_e32 v19, 0x4000, v3
	v_mov_b32_e32 v21, 0x4098
	v_mov_b32_e32 v22, 0x40a8
	;; [unrolled: 1-line block ×6, first 2 shown]
	s_add_nc_u64 s[8:9], s[10:11], s[8:9]
	s_cmp_gt_i32 s13, 1
	s_add_nc_u64 s[8:9], s[8:9], s[16:17]
	s_add_nc_u64 s[6:7], s[6:7], s[20:21]
	s_cselect_b32 s3, -1, 0
	s_lshl_b32 s14, s5, 10
	s_branch .LBB9_6
.LBB9_5:                                ;   in Loop: Header=BB9_6 Depth=1
	s_or_b32 exec_lo, exec_lo, s5
	s_add_co_i32 s4, s4, 64
	s_delay_alu instid0(SALU_CYCLE_1)
	s_cmp_ge_i32 s4, s12
	s_cbranch_scc1 .LBB9_23
.LBB9_6:                                ; =>This Loop Header: Depth=1
                                        ;     Child Loop BB9_8 Depth 2
                                        ;     Child Loop BB9_22 Depth 2
	v_mov_b64_e32 v[2:3], 0
	s_ashr_i32 s5, s4, 31
	s_delay_alu instid0(SALU_CYCLE_1) | instskip(NEXT) | instid1(SALU_CYCLE_1)
	s_lshl_b64 s[10:11], s[4:5], 3
	s_add_nc_u64 s[10:11], s[8:9], s[10:11]
	s_and_saveexec_b32 s5, s2
	s_cbranch_execz .LBB9_10
; %bb.7:                                ;   in Loop: Header=BB9_6 Depth=1
	v_dual_mov_b32 v2, 0 :: v_dual_mov_b32 v4, v20
	v_dual_mov_b32 v5, v1 :: v_dual_mov_b32 v6, v0
	s_mov_b32 s15, 0
	s_delay_alu instid0(VALU_DEP_2)
	v_mov_b32_e32 v3, v2
.LBB9_8:                                ;   Parent Loop BB9_6 Depth=1
                                        ; =>  This Inner Loop Header: Depth=2
	global_load_b64 v[28:29], v4, s[10:11] scale_offset
	ds_load_b64 v[30:31], v5
	v_add_nc_u32_e32 v5, 0x2000, v5
	s_wait_xcnt 0x0
	v_add_nc_u32_e32 v4, s14, v4
	s_wait_loadcnt_dscnt 0x0
	v_pk_mul_f32 v[32:33], v[28:29], v[30:31] op_sel:[1,1] op_sel_hi:[0,1]
	s_delay_alu instid0(VALU_DEP_1) | instskip(SKIP_2) | instid1(VALU_DEP_3)
	v_pk_fma_f32 v[34:35], v[28:29], v[30:31], v[32:33] op_sel_hi:[1,0,1]
	v_add_nc_u32_e32 v6, 0x400, v6
	v_pk_fma_f32 v[28:29], v[28:29], v[30:31], v[32:33] neg_lo:[0,0,1] neg_hi:[0,0,1]
	v_mov_b32_e32 v29, v35
	s_delay_alu instid0(VALU_DEP_3) | instskip(NEXT) | instid1(VALU_DEP_2)
	v_cmp_le_i32_e32 vcc_lo, s13, v6
	v_pk_add_f32 v[2:3], v[2:3], v[28:29]
	s_or_b32 s15, vcc_lo, s15
	s_delay_alu instid0(SALU_CYCLE_1)
	s_and_not1_b32 exec_lo, exec_lo, s15
	s_cbranch_execnz .LBB9_8
; %bb.9:                                ;   in Loop: Header=BB9_6 Depth=1
	s_or_b32 exec_lo, exec_lo, s15
.LBB9_10:                               ;   in Loop: Header=BB9_6 Depth=1
	s_delay_alu instid0(SALU_CYCLE_1) | instskip(NEXT) | instid1(SALU_CYCLE_1)
	s_or_b32 exec_lo, exec_lo, s5
	s_and_b32 vcc_lo, exec_lo, s3
	s_cbranch_vccz .LBB9_17
; %bb.11:                               ;   in Loop: Header=BB9_6 Depth=1
	v_cmp_ne_u32_e32 vcc_lo, 31, v8
	v_add_co_ci_u32_e64 v4, null, 0, v8, vcc_lo
	v_cmp_gt_u32_e32 vcc_lo, 30, v8
	s_delay_alu instid0(VALU_DEP_2)
	v_lshlrev_b32_e32 v5, 2, v4
	v_cndmask_b32_e64 v6, 0, 2, vcc_lo
	v_cmp_gt_u32_e32 vcc_lo, 28, v8
	ds_bpermute_b32 v4, v5, v2
	ds_bpermute_b32 v5, v5, v3
	v_add_lshl_u32 v7, v6, v8, 2
	v_cndmask_b32_e64 v28, 0, 4, vcc_lo
	v_cmp_gt_u32_e32 vcc_lo, 24, v8
	s_delay_alu instid0(VALU_DEP_2)
	v_add_lshl_u32 v28, v28, v8, 2
	s_wait_dscnt 0x0
	v_pk_add_f32 v[4:5], v[2:3], v[4:5]
	ds_bpermute_b32 v6, v7, v4
	ds_bpermute_b32 v7, v7, v5
	s_wait_dscnt 0x0
	v_pk_add_f32 v[4:5], v[4:5], v[6:7]
	ds_bpermute_b32 v6, v28, v4
	ds_bpermute_b32 v7, v28, v5
	v_cndmask_b32_e64 v28, 0, 8, vcc_lo
	s_delay_alu instid0(VALU_DEP_1)
	v_add_lshl_u32 v28, v28, v8, 2
	s_wait_dscnt 0x0
	v_pk_add_f32 v[4:5], v[4:5], v[6:7]
	ds_bpermute_b32 v6, v28, v4
	ds_bpermute_b32 v7, v28, v5
	s_wait_dscnt 0x0
	v_pk_add_f32 v[4:5], v[4:5], v[6:7]
	ds_bpermute_b32 v6, v18, v4
	ds_bpermute_b32 v7, v18, v5
	s_wait_dscnt 0x0
	v_pk_add_f32 v[4:5], v[4:5], v[6:7]
	s_and_saveexec_b32 s5, s1
; %bb.12:                               ;   in Loop: Header=BB9_6 Depth=1
	ds_store_2addr_b32 v19, v4, v5 offset1:1
; %bb.13:                               ;   in Loop: Header=BB9_6 Depth=1
	s_or_b32 exec_lo, exec_lo, s5
	s_mov_b32 s15, 0
	s_mov_b32 s5, 0
	s_wait_dscnt 0x0
	s_barrier_signal -1
	s_barrier_wait -1
                                        ; implicit-def: $vgpr6_vgpr7
	s_and_saveexec_b32 s16, s0
	s_delay_alu instid0(SALU_CYCLE_1)
	s_xor_b32 s16, exec_lo, s16
	s_cbranch_execz .LBB9_15
; %bb.14:                               ;   in Loop: Header=BB9_6 Depth=1
	ds_load_2addr_b64 v[28:31], v9 offset1:1
	ds_load_2addr_b64 v[32:35], v10 offset1:1
	;; [unrolled: 1-line block ×3, first 2 shown]
	s_mov_b32 s5, exec_lo
	s_wait_dscnt 0x2
	v_pk_add_f32 v[4:5], v[4:5], v[28:29]
	s_delay_alu instid0(VALU_DEP_1) | instskip(SKIP_3) | instid1(VALU_DEP_1)
	v_pk_add_f32 v[28:29], v[4:5], v[30:31]
	ds_load_2addr_b64 v[4:7], v12 offset1:1
	s_wait_dscnt 0x2
	v_pk_add_f32 v[28:29], v[28:29], v[32:33]
	v_pk_add_f32 v[32:33], v[28:29], v[34:35]
	ds_load_2addr_b64 v[28:31], v13 offset1:1
	s_wait_dscnt 0x2
	v_pk_add_f32 v[32:33], v[32:33], v[36:37]
	s_delay_alu instid0(VALU_DEP_1) | instskip(SKIP_3) | instid1(VALU_DEP_1)
	v_pk_add_f32 v[36:37], v[32:33], v[38:39]
	ds_load_2addr_b64 v[32:35], v14 offset1:1
	s_wait_dscnt 0x2
	v_pk_add_f32 v[4:5], v[36:37], v[4:5]
	v_pk_add_f32 v[36:37], v[4:5], v[6:7]
	ds_load_2addr_b64 v[4:7], v15 offset1:1
	;; [unrolled: 9-line block ×5, first 2 shown]
	s_wait_dscnt 0x2
	v_pk_add_f32 v[28:29], v[36:37], v[28:29]
	s_delay_alu instid0(VALU_DEP_1) | instskip(SKIP_3) | instid1(VALU_DEP_1)
	v_pk_add_f32 v[36:37], v[28:29], v[30:31]
	ds_load_2addr_b64 v[28:31], v25 offset1:1
	s_wait_dscnt 0x2
	v_pk_add_f32 v[32:33], v[36:37], v[32:33]
	v_pk_add_f32 v[32:33], v[32:33], v[34:35]
	s_wait_dscnt 0x1
	s_delay_alu instid0(VALU_DEP_1)
	v_pk_add_f32 v[4:5], v[32:33], v[4:5]
	ds_load_2addr_b64 v[32:35], v26 offset1:1
	v_pk_add_f32 v[4:5], v[4:5], v[6:7]
	ds_load_b64 v[6:7], v27 offset:16632
	s_wait_dscnt 0x2
	v_pk_add_f32 v[4:5], v[4:5], v[28:29]
	s_delay_alu instid0(VALU_DEP_1) | instskip(SKIP_1) | instid1(VALU_DEP_1)
	v_pk_add_f32 v[4:5], v[4:5], v[30:31]
	s_wait_dscnt 0x1
	v_pk_add_f32 v[4:5], v[4:5], v[32:33]
	s_delay_alu instid0(VALU_DEP_1) | instskip(SKIP_1) | instid1(VALU_DEP_1)
	v_pk_add_f32 v[4:5], v[4:5], v[34:35]
	s_wait_dscnt 0x0
	v_pk_add_f32 v[6:7], v[4:5], v[6:7]
.LBB9_15:                               ;   in Loop: Header=BB9_6 Depth=1
	s_or_b32 exec_lo, exec_lo, s16
	s_delay_alu instid0(SALU_CYCLE_1)
	s_and_b32 vcc_lo, exec_lo, s15
	s_cbranch_vccnz .LBB9_18
.LBB9_16:                               ;   in Loop: Header=BB9_6 Depth=1
	s_delay_alu instid0(VALU_DEP_1)
	v_mov_b64_e32 v[2:3], v[6:7]
	s_and_saveexec_b32 s15, s5
	s_cbranch_execnz .LBB9_19
	s_branch .LBB9_20
.LBB9_17:                               ;   in Loop: Header=BB9_6 Depth=1
	s_mov_b32 s5, 0
                                        ; implicit-def: $vgpr6_vgpr7
	s_cbranch_execz .LBB9_16
.LBB9_18:                               ;   in Loop: Header=BB9_6 Depth=1
	s_and_not1_b32 s5, s5, exec_lo
	s_and_b32 s15, s0, exec_lo
	s_delay_alu instid0(SALU_CYCLE_1) | instskip(NEXT) | instid1(SALU_CYCLE_1)
	s_or_b32 s5, s5, s15
	s_and_saveexec_b32 s15, s5
.LBB9_19:                               ;   in Loop: Header=BB9_6 Depth=1
	ds_store_b64 v27, v[2:3] offset:16384
.LBB9_20:                               ;   in Loop: Header=BB9_6 Depth=1
	s_or_b32 exec_lo, exec_lo, s15
	s_wait_dscnt 0x0
	s_barrier_signal -1
	s_barrier_wait -1
	s_and_saveexec_b32 s5, s2
	s_cbranch_execz .LBB9_5
; %bb.21:                               ;   in Loop: Header=BB9_6 Depth=1
	global_load_b64 v[2:3], v27, s[6:7]
	ds_load_b64 v[6:7], v27 offset:16384
	s_mov_b32 s15, 0
	s_wait_loadcnt_dscnt 0x0
	v_dual_mul_f32 v4, v2, v7 :: v_dual_mul_f32 v5, v2, v6
	v_xor_b32_e32 v28, 0x80000000, v3
	s_delay_alu instid0(VALU_DEP_2) | instskip(NEXT) | instid1(VALU_DEP_3)
	v_xor_b32_e32 v2, 0x80000000, v4
	v_xor_b32_e32 v4, 0x80000000, v5
	s_delay_alu instid0(VALU_DEP_1) | instskip(SKIP_1) | instid1(VALU_DEP_2)
	v_dual_fmac_f32 v2, v6, v28 :: v_dual_fmac_f32 v4, v3, v7
	v_dual_mov_b32 v6, v1 :: v_dual_mov_b32 v7, v20
	v_dual_mov_b32 v28, v0 :: v_dual_mov_b32 v3, v2
	s_delay_alu instid0(VALU_DEP_3)
	v_mov_b32_e32 v5, v4
.LBB9_22:                               ;   Parent Loop BB9_6 Depth=1
                                        ; =>  This Inner Loop Header: Depth=2
	global_load_b64 v[30:31], v7, s[10:11] scale_offset
	ds_load_b64 v[32:33], v6
	v_add_nc_u32_e32 v6, 0x2000, v6
	v_add_nc_u32_e32 v28, 0x400, v28
	s_delay_alu instid0(VALU_DEP_1) | instskip(SKIP_3) | instid1(VALU_DEP_1)
	v_cmp_le_i32_e32 vcc_lo, s13, v28
	s_or_b32 s15, vcc_lo, s15
	s_wait_dscnt 0x0
	v_pk_mul_f32 v[34:35], v[4:5], v[32:33]
	v_pk_fma_f32 v[36:37], v[2:3], v[32:33], v[34:35] op_sel:[0,1,0] op_sel_hi:[1,0,1] neg_lo:[0,0,1] neg_hi:[0,0,1]
	v_pk_fma_f32 v[32:33], v[2:3], v[32:33], v[34:35] op_sel:[0,1,0] op_sel_hi:[1,0,1]
	s_delay_alu instid0(VALU_DEP_2) | instskip(SKIP_1) | instid1(VALU_DEP_1)
	v_mov_b32_e32 v33, v37
	s_wait_loadcnt 0x0
	v_pk_add_f32 v[30:31], v[30:31], v[32:33]
	global_store_b64 v7, v[30:31], s[10:11] scale_offset
	s_wait_xcnt 0x0
	v_add_nc_u32_e32 v7, s14, v7
	s_and_not1_b32 exec_lo, exec_lo, s15
	s_cbranch_execnz .LBB9_22
	s_branch .LBB9_5
.LBB9_23:
	s_endpgm
	.section	.rodata,"a",@progbits
	.p2align	6, 0x0
	.amdhsa_kernel _ZN9rocsolver6v33100L23larf_right_kernel_smallILi1024E19rocblas_complex_numIfEiPS3_EEvT1_S5_T2_lS5_lPKT0_lS6_lS5_l
		.amdhsa_group_segment_fixed_size 16640
		.amdhsa_private_segment_fixed_size 0
		.amdhsa_kernarg_size 88
		.amdhsa_user_sgpr_count 2
		.amdhsa_user_sgpr_dispatch_ptr 0
		.amdhsa_user_sgpr_queue_ptr 0
		.amdhsa_user_sgpr_kernarg_segment_ptr 1
		.amdhsa_user_sgpr_dispatch_id 0
		.amdhsa_user_sgpr_kernarg_preload_length 0
		.amdhsa_user_sgpr_kernarg_preload_offset 0
		.amdhsa_user_sgpr_private_segment_size 0
		.amdhsa_wavefront_size32 1
		.amdhsa_uses_dynamic_stack 0
		.amdhsa_enable_private_segment 0
		.amdhsa_system_sgpr_workgroup_id_x 1
		.amdhsa_system_sgpr_workgroup_id_y 1
		.amdhsa_system_sgpr_workgroup_id_z 0
		.amdhsa_system_sgpr_workgroup_info 0
		.amdhsa_system_vgpr_workitem_id 0
		.amdhsa_next_free_vgpr 40
		.amdhsa_next_free_sgpr 26
		.amdhsa_named_barrier_count 0
		.amdhsa_reserve_vcc 1
		.amdhsa_float_round_mode_32 0
		.amdhsa_float_round_mode_16_64 0
		.amdhsa_float_denorm_mode_32 3
		.amdhsa_float_denorm_mode_16_64 3
		.amdhsa_fp16_overflow 0
		.amdhsa_memory_ordered 1
		.amdhsa_forward_progress 1
		.amdhsa_inst_pref_size 15
		.amdhsa_round_robin_scheduling 0
		.amdhsa_exception_fp_ieee_invalid_op 0
		.amdhsa_exception_fp_denorm_src 0
		.amdhsa_exception_fp_ieee_div_zero 0
		.amdhsa_exception_fp_ieee_overflow 0
		.amdhsa_exception_fp_ieee_underflow 0
		.amdhsa_exception_fp_ieee_inexact 0
		.amdhsa_exception_int_div_zero 0
	.end_amdhsa_kernel
	.section	.text._ZN9rocsolver6v33100L23larf_right_kernel_smallILi1024E19rocblas_complex_numIfEiPS3_EEvT1_S5_T2_lS5_lPKT0_lS6_lS5_l,"axG",@progbits,_ZN9rocsolver6v33100L23larf_right_kernel_smallILi1024E19rocblas_complex_numIfEiPS3_EEvT1_S5_T2_lS5_lPKT0_lS6_lS5_l,comdat
.Lfunc_end9:
	.size	_ZN9rocsolver6v33100L23larf_right_kernel_smallILi1024E19rocblas_complex_numIfEiPS3_EEvT1_S5_T2_lS5_lPKT0_lS6_lS5_l, .Lfunc_end9-_ZN9rocsolver6v33100L23larf_right_kernel_smallILi1024E19rocblas_complex_numIfEiPS3_EEvT1_S5_T2_lS5_lPKT0_lS6_lS5_l
                                        ; -- End function
	.set _ZN9rocsolver6v33100L23larf_right_kernel_smallILi1024E19rocblas_complex_numIfEiPS3_EEvT1_S5_T2_lS5_lPKT0_lS6_lS5_l.num_vgpr, 40
	.set _ZN9rocsolver6v33100L23larf_right_kernel_smallILi1024E19rocblas_complex_numIfEiPS3_EEvT1_S5_T2_lS5_lPKT0_lS6_lS5_l.num_agpr, 0
	.set _ZN9rocsolver6v33100L23larf_right_kernel_smallILi1024E19rocblas_complex_numIfEiPS3_EEvT1_S5_T2_lS5_lPKT0_lS6_lS5_l.numbered_sgpr, 26
	.set _ZN9rocsolver6v33100L23larf_right_kernel_smallILi1024E19rocblas_complex_numIfEiPS3_EEvT1_S5_T2_lS5_lPKT0_lS6_lS5_l.num_named_barrier, 0
	.set _ZN9rocsolver6v33100L23larf_right_kernel_smallILi1024E19rocblas_complex_numIfEiPS3_EEvT1_S5_T2_lS5_lPKT0_lS6_lS5_l.private_seg_size, 0
	.set _ZN9rocsolver6v33100L23larf_right_kernel_smallILi1024E19rocblas_complex_numIfEiPS3_EEvT1_S5_T2_lS5_lPKT0_lS6_lS5_l.uses_vcc, 1
	.set _ZN9rocsolver6v33100L23larf_right_kernel_smallILi1024E19rocblas_complex_numIfEiPS3_EEvT1_S5_T2_lS5_lPKT0_lS6_lS5_l.uses_flat_scratch, 0
	.set _ZN9rocsolver6v33100L23larf_right_kernel_smallILi1024E19rocblas_complex_numIfEiPS3_EEvT1_S5_T2_lS5_lPKT0_lS6_lS5_l.has_dyn_sized_stack, 0
	.set _ZN9rocsolver6v33100L23larf_right_kernel_smallILi1024E19rocblas_complex_numIfEiPS3_EEvT1_S5_T2_lS5_lPKT0_lS6_lS5_l.has_recursion, 0
	.set _ZN9rocsolver6v33100L23larf_right_kernel_smallILi1024E19rocblas_complex_numIfEiPS3_EEvT1_S5_T2_lS5_lPKT0_lS6_lS5_l.has_indirect_call, 0
	.section	.AMDGPU.csdata,"",@progbits
; Kernel info:
; codeLenInByte = 1876
; TotalNumSgprs: 28
; NumVgprs: 40
; ScratchSize: 0
; MemoryBound: 0
; FloatMode: 240
; IeeeMode: 1
; LDSByteSize: 16640 bytes/workgroup (compile time only)
; SGPRBlocks: 0
; VGPRBlocks: 2
; NumSGPRsForWavesPerEU: 28
; NumVGPRsForWavesPerEU: 40
; NamedBarCnt: 0
; Occupancy: 16
; WaveLimiterHint : 0
; COMPUTE_PGM_RSRC2:SCRATCH_EN: 0
; COMPUTE_PGM_RSRC2:USER_SGPR: 2
; COMPUTE_PGM_RSRC2:TRAP_HANDLER: 0
; COMPUTE_PGM_RSRC2:TGID_X_EN: 1
; COMPUTE_PGM_RSRC2:TGID_Y_EN: 1
; COMPUTE_PGM_RSRC2:TGID_Z_EN: 0
; COMPUTE_PGM_RSRC2:TIDIG_COMP_CNT: 0
	.section	.text._ZN9rocsolver6v33100L22larf_left_kernel_smallILi64E19rocblas_complex_numIfEiPKPS3_EEvT1_S7_T2_lS7_lPKT0_lS8_lS7_l,"axG",@progbits,_ZN9rocsolver6v33100L22larf_left_kernel_smallILi64E19rocblas_complex_numIfEiPKPS3_EEvT1_S7_T2_lS7_lPKT0_lS8_lS7_l,comdat
	.globl	_ZN9rocsolver6v33100L22larf_left_kernel_smallILi64E19rocblas_complex_numIfEiPKPS3_EEvT1_S7_T2_lS7_lPKT0_lS8_lS7_l ; -- Begin function _ZN9rocsolver6v33100L22larf_left_kernel_smallILi64E19rocblas_complex_numIfEiPKPS3_EEvT1_S7_T2_lS7_lPKT0_lS8_lS7_l
	.p2align	8
	.type	_ZN9rocsolver6v33100L22larf_left_kernel_smallILi64E19rocblas_complex_numIfEiPKPS3_EEvT1_S7_T2_lS7_lPKT0_lS8_lS7_l,@function
_ZN9rocsolver6v33100L22larf_left_kernel_smallILi64E19rocblas_complex_numIfEiPKPS3_EEvT1_S7_T2_lS7_lPKT0_lS8_lS7_l: ; @_ZN9rocsolver6v33100L22larf_left_kernel_smallILi64E19rocblas_complex_numIfEiPKPS3_EEvT1_S7_T2_lS7_lPKT0_lS8_lS7_l
; %bb.0:
	s_load_b256 s[4:11], s[0:1], 0x28
	s_bfe_u32 s2, ttmp6, 0x4000c
	s_and_b32 s12, ttmp6, 15
	s_add_co_i32 s2, s2, 1
	s_getreg_b32 s3, hwreg(HW_REG_IB_STS2, 6, 4)
	s_mul_i32 s2, ttmp9, s2
	v_lshlrev_b32_e32 v2, 3, v0
	s_add_co_i32 s12, s12, s2
	s_cmp_eq_u32 s3, 0
	s_mov_b32 s19, 0
	s_cselect_b32 s14, ttmp9, s12
	s_load_b64 s[12:13], s[0:1], 0x0
	s_ashr_i32 s15, s14, 31
	s_delay_alu instid0(SALU_CYCLE_1)
	s_lshl_b64 s[16:17], s[14:15], 3
	s_wait_kmcnt 0x0
	s_add_nc_u64 s[8:9], s[8:9], s[16:17]
	s_load_b64 s[8:9], s[8:9], 0x0
	v_cmp_gt_i32_e64 s2, s12, v0
	s_and_saveexec_b32 s18, s2
	s_cbranch_execz .LBB10_3
; %bb.1:
	s_clause 0x1
	s_load_b128 s[20:23], s[0:1], 0x8
	s_load_b32 s24, s[0:1], 0x18
	s_sub_co_i32 s25, 1, s12
	v_dual_mov_b32 v4, v0 :: v_dual_lshlrev_b32 v3, 3, v0
	s_wait_kmcnt 0x0
	s_add_nc_u64 s[16:17], s[20:21], s[16:17]
	s_lshl_b64 s[20:21], s[22:23], 3
	s_load_b64 s[16:17], s[16:17], 0x0
	s_mul_i32 s22, s24, s25
	s_cmp_lt_i32 s24, 1
	s_cselect_b32 s22, s22, 0
	s_delay_alu instid0(SALU_CYCLE_1)
	v_mad_u32 v1, v0, s24, s22
	s_wait_kmcnt 0x0
	s_add_nc_u64 s[16:17], s[16:17], s[20:21]
	s_lshl_b32 s20, s24, 6
.LBB10_2:                               ; =>This Inner Loop Header: Depth=1
	flat_load_b64 v[6:7], v1, s[16:17] scale_offset
	s_wait_xcnt 0x0
	v_dual_add_nc_u32 v4, 64, v4 :: v_dual_add_nc_u32 v1, s20, v1
	s_delay_alu instid0(VALU_DEP_1)
	v_cmp_le_i32_e32 vcc_lo, s12, v4
	s_or_b32 s19, vcc_lo, s19
	s_wait_loadcnt_dscnt 0x0
	ds_store_b64 v3, v[6:7]
	v_add_nc_u32_e32 v3, 0x200, v3
	s_and_not1_b32 exec_lo, exec_lo, s19
	s_cbranch_execnz .LBB10_2
.LBB10_3:
	s_or_b32 exec_lo, exec_lo, s18
	s_bfe_u32 s16, ttmp6, 0x40010
	s_bfe_u32 s17, ttmp6, 0x40004
	s_add_co_i32 s16, s16, 1
	s_wait_dscnt 0x0
	s_mul_i32 s16, ttmp7, s16
	s_barrier_signal -1
	s_add_co_i32 s17, s17, s16
	s_cmp_eq_u32 s3, 0
	s_barrier_wait -1
	s_cselect_b32 s18, ttmp7, s17
	s_delay_alu instid0(SALU_CYCLE_1)
	s_cmp_ge_i32 s18, s13
	s_cbranch_scc1 .LBB10_37
; %bb.4:
	v_xad_u32 v4, v0, -1, s12
	s_load_b32 s19, s[0:1], 0x48
	v_dual_lshrrev_b32 v7, 2, v0 :: v_dual_bitop2_b32 v5, 31, v0 bitop3:0x40
	s_lshl_b64 s[10:11], s[10:11], 3
	s_delay_alu instid0(VALU_DEP_2) | instskip(SKIP_3) | instid1(VALU_DEP_3)
	v_dual_mov_b32 v3, 0 :: v_dual_lshrrev_b32 v6, 6, v4
	v_or_b32_e32 v1, 64, v0
	v_mbcnt_lo_u32_b32 v14, -1, 0
	s_mul_u64 s[6:7], s[6:7], s[14:15]
	v_add_nc_u32_e32 v8, -1, v6
	s_wait_kmcnt 0x0
	s_add_nc_u64 s[8:9], s[8:9], s[10:11]
	s_lshl_b64 s[6:7], s[6:7], 3
	v_cmp_eq_u32_e64 s1, 0, v5
	v_cmp_lt_u32_e64 s3, 63, v4
	v_dual_lshrrev_b32 v9, 1, v8 :: v_dual_add_nc_u32 v6, 1, v6
	v_add_nc_u64_e32 v[4:5], s[8:9], v[2:3]
	v_cmp_eq_u32_e64 s0, 0, v0
	s_add_nc_u64 s[10:11], s[4:5], s[6:7]
	v_lshl_or_b32 v15, v14, 2, 64
	v_and_b32_e32 v10, 0x7fffffe, v6
	v_or_b32_e32 v16, 0x4000, v7
	v_cmp_lt_u32_e64 s4, 5, v8
	s_cmp_gt_i32 s12, 1
	s_mul_i32 s14, s18, s19
	v_lshl_or_b32 v18, v10, 6, v0
	v_add_nc_u32_e32 v9, 1, v9
	v_cmp_ne_u32_e64 s5, v6, v10
	s_cselect_b32 s7, -1, 0
	s_lshl_b32 s20, s19, 6
	v_dual_lshlrev_b32 v20, 3, v18 :: v_dual_bitop2_b32 v17, 3, v9 bitop3:0x40
	v_and_b32_e32 v19, -4, v9
	s_delay_alu instid0(VALU_DEP_2)
	v_cmp_ne_u32_e64 s6, 0, v17
	s_branch .LBB10_6
.LBB10_5:                               ;   in Loop: Header=BB10_6 Depth=1
	s_or_b32 exec_lo, exec_lo, s15
	s_add_co_i32 s18, s18, 64
	s_add_co_i32 s14, s14, s20
	s_cmp_ge_i32 s18, s13
	s_cbranch_scc1 .LBB10_37
.LBB10_6:                               ; =>This Loop Header: Depth=1
                                        ;     Child Loop BB10_8 Depth 2
                                        ;     Child Loop BB10_26 Depth 2
	;; [unrolled: 1-line block ×4, first 2 shown]
	v_mov_b64_e32 v[6:7], 0
	s_ashr_i32 s15, s14, 31
	s_delay_alu instid0(SALU_CYCLE_1)
	s_lshl_b64 s[16:17], s[14:15], 3
	s_and_saveexec_b32 s15, s2
	s_cbranch_execz .LBB10_10
; %bb.7:                                ;   in Loop: Header=BB10_6 Depth=1
	v_dual_mov_b32 v6, 0 :: v_dual_mov_b32 v10, v2
	v_add_nc_u64_e32 v[8:9], s[16:17], v[4:5]
	v_mov_b32_e32 v11, v0
	s_mov_b32 s21, 0
	s_delay_alu instid0(VALU_DEP_3)
	v_mov_b32_e32 v7, v6
.LBB10_8:                               ;   Parent Loop BB10_6 Depth=1
                                        ; =>  This Inner Loop Header: Depth=2
	flat_load_b64 v[12:13], v[8:9]
	ds_load_b64 v[22:23], v10
	s_wait_xcnt 0x0
	v_add_nc_u64_e32 v[8:9], 0x200, v[8:9]
	v_add_nc_u32_e32 v11, 64, v11
	v_add_nc_u32_e32 v10, 0x200, v10
	s_delay_alu instid0(VALU_DEP_2)
	v_cmp_le_i32_e32 vcc_lo, s12, v11
	s_or_b32 s21, vcc_lo, s21
	s_wait_dscnt 0x0
	v_mov_b32_e32 v26, v23
	s_wait_loadcnt 0x0
	v_pk_mul_f32 v[24:25], v[12:13], v[22:23] op_sel_hi:[1,0]
	s_delay_alu instid0(VALU_DEP_1) | instskip(NEXT) | instid1(VALU_DEP_3)
	v_pk_fma_f32 v[22:23], v[12:13], v[22:23], v[24:25] op_sel:[1,1,0] op_sel_hi:[0,1,1] neg_lo:[0,0,1] neg_hi:[0,0,1]
	v_pk_fma_f32 v[12:13], v[12:13], v[26:27], v[24:25] op_sel:[1,0,0] op_sel_hi:[0,1,1]
	s_delay_alu instid0(VALU_DEP_2) | instskip(NEXT) | instid1(VALU_DEP_1)
	v_mov_b32_e32 v13, v23
	v_pk_add_f32 v[6:7], v[6:7], v[12:13]
	s_and_not1_b32 exec_lo, exec_lo, s21
	s_cbranch_execnz .LBB10_8
; %bb.9:                                ;   in Loop: Header=BB10_6 Depth=1
	s_or_b32 exec_lo, exec_lo, s21
.LBB10_10:                              ;   in Loop: Header=BB10_6 Depth=1
	s_delay_alu instid0(SALU_CYCLE_1) | instskip(NEXT) | instid1(SALU_CYCLE_1)
	s_or_b32 exec_lo, exec_lo, s15
	s_and_b32 vcc_lo, exec_lo, s7
	s_cbranch_vccz .LBB10_17
; %bb.11:                               ;   in Loop: Header=BB10_6 Depth=1
	v_cmp_ne_u32_e32 vcc_lo, 31, v14
	v_add_co_ci_u32_e64 v8, null, 0, v14, vcc_lo
	v_cmp_gt_u32_e32 vcc_lo, 30, v14
	s_delay_alu instid0(VALU_DEP_2)
	v_lshlrev_b32_e32 v9, 2, v8
	v_cndmask_b32_e64 v10, 0, 2, vcc_lo
	v_cmp_gt_u32_e32 vcc_lo, 28, v14
	ds_bpermute_b32 v8, v9, v6
	ds_bpermute_b32 v9, v9, v7
	v_add_lshl_u32 v11, v10, v14, 2
	v_cndmask_b32_e64 v12, 0, 4, vcc_lo
	v_cmp_gt_u32_e32 vcc_lo, 24, v14
	s_delay_alu instid0(VALU_DEP_2)
	v_add_lshl_u32 v12, v12, v14, 2
	s_wait_dscnt 0x0
	v_pk_add_f32 v[8:9], v[6:7], v[8:9]
	ds_bpermute_b32 v10, v11, v8
	ds_bpermute_b32 v11, v11, v9
	s_wait_dscnt 0x0
	v_pk_add_f32 v[8:9], v[8:9], v[10:11]
	ds_bpermute_b32 v10, v12, v8
	ds_bpermute_b32 v11, v12, v9
	v_cndmask_b32_e64 v12, 0, 8, vcc_lo
	s_delay_alu instid0(VALU_DEP_1)
	v_add_lshl_u32 v12, v12, v14, 2
	s_wait_dscnt 0x0
	v_pk_add_f32 v[8:9], v[8:9], v[10:11]
	ds_bpermute_b32 v10, v12, v8
	ds_bpermute_b32 v11, v12, v9
	s_wait_dscnt 0x0
	v_pk_add_f32 v[8:9], v[8:9], v[10:11]
	ds_bpermute_b32 v10, v15, v8
	ds_bpermute_b32 v11, v15, v9
	s_wait_dscnt 0x0
	v_pk_add_f32 v[10:11], v[8:9], v[10:11]
	s_and_saveexec_b32 s15, s1
; %bb.12:                               ;   in Loop: Header=BB10_6 Depth=1
	ds_store_2addr_b32 v16, v10, v11 offset1:1
; %bb.13:                               ;   in Loop: Header=BB10_6 Depth=1
	s_or_b32 exec_lo, exec_lo, s15
	s_mov_b32 s21, 0
	s_mov_b32 s15, 0
	s_wait_dscnt 0x0
	s_barrier_signal -1
	s_barrier_wait -1
                                        ; implicit-def: $vgpr8_vgpr9
	s_and_saveexec_b32 s22, s0
	s_delay_alu instid0(SALU_CYCLE_1)
	s_xor_b32 s22, exec_lo, s22
	s_cbranch_execz .LBB10_15
; %bb.14:                               ;   in Loop: Header=BB10_6 Depth=1
	ds_load_b64 v[8:9], v3 offset:16392
	s_mov_b32 s15, exec_lo
	s_wait_dscnt 0x0
	v_pk_add_f32 v[8:9], v[10:11], v[8:9]
.LBB10_15:                              ;   in Loop: Header=BB10_6 Depth=1
	s_or_b32 exec_lo, exec_lo, s22
	s_delay_alu instid0(SALU_CYCLE_1)
	s_and_b32 vcc_lo, exec_lo, s21
	s_cbranch_vccnz .LBB10_18
.LBB10_16:                              ;   in Loop: Header=BB10_6 Depth=1
	s_delay_alu instid0(VALU_DEP_1)
	v_mov_b64_e32 v[6:7], v[8:9]
	s_and_saveexec_b32 s21, s15
	s_cbranch_execnz .LBB10_19
	s_branch .LBB10_20
.LBB10_17:                              ;   in Loop: Header=BB10_6 Depth=1
	s_mov_b32 s15, 0
                                        ; implicit-def: $vgpr8_vgpr9
	s_cbranch_execz .LBB10_16
.LBB10_18:                              ;   in Loop: Header=BB10_6 Depth=1
	s_and_not1_b32 s15, s15, exec_lo
	s_and_b32 s21, s0, exec_lo
	s_delay_alu instid0(SALU_CYCLE_1) | instskip(NEXT) | instid1(SALU_CYCLE_1)
	s_or_b32 s15, s15, s21
	s_and_saveexec_b32 s21, s15
.LBB10_19:                              ;   in Loop: Header=BB10_6 Depth=1
	ds_store_b64 v3, v[6:7] offset:16384
.LBB10_20:                              ;   in Loop: Header=BB10_6 Depth=1
	s_or_b32 exec_lo, exec_lo, s21
	s_wait_dscnt 0x0
	s_barrier_signal -1
	s_barrier_wait -1
	s_and_saveexec_b32 s15, s2
	s_cbranch_execz .LBB10_5
; %bb.21:                               ;   in Loop: Header=BB10_6 Depth=1
	global_load_b64 v[10:11], v3, s[10:11]
	ds_load_b64 v[12:13], v3 offset:16384
	s_mov_b32 s22, 0
                                        ; implicit-def: $vgpr21
	s_wait_loadcnt_dscnt 0x0
	v_dual_mul_f32 v6, v11, v13 :: v_dual_mul_f32 v7, v11, v12
	v_xor_b32_e32 v9, 0x80000000, v10
	s_delay_alu instid0(VALU_DEP_2) | instskip(NEXT) | instid1(VALU_DEP_3)
	v_xor_b32_e32 v6, 0x80000000, v6
	v_xor_b32_e32 v8, 0x80000000, v7
	s_delay_alu instid0(VALU_DEP_2) | instskip(NEXT) | instid1(VALU_DEP_2)
	v_fmac_f32_e32 v6, v12, v9
	v_fmac_f32_e32 v8, v10, v13
	s_wait_xcnt 0x0
	s_and_saveexec_b32 s21, s3
	s_delay_alu instid0(SALU_CYCLE_1)
	s_xor_b32 s21, exec_lo, s21
	s_cbranch_execnz .LBB10_24
; %bb.22:                               ;   in Loop: Header=BB10_6 Depth=1
	s_or_saveexec_b32 s21, s21
	v_mov_b32_e32 v10, v18
	s_xor_b32 exec_lo, exec_lo, s21
	s_cbranch_execnz .LBB10_34
.LBB10_23:                              ;   in Loop: Header=BB10_6 Depth=1
	s_or_b32 exec_lo, exec_lo, s21
	s_delay_alu instid0(SALU_CYCLE_1)
	s_and_b32 exec_lo, exec_lo, s22
	s_cbranch_execz .LBB10_5
	s_branch .LBB10_35
.LBB10_24:                              ;   in Loop: Header=BB10_6 Depth=1
	v_mov_b64_e32 v[10:11], v[0:1]
	v_dual_mov_b32 v7, v6 :: v_dual_mov_b32 v9, v8
	v_mov_b32_e32 v21, 0
	s_mul_i32 s22, s18, s19
	s_and_saveexec_b32 s23, s4
	s_cbranch_execz .LBB10_28
; %bb.25:                               ;   in Loop: Header=BB10_6 Depth=1
	v_mov_b64_e32 v[10:11], v[0:1]
	v_dual_mov_b32 v12, v19 :: v_dual_mov_b32 v13, v2
	s_add_co_i32 s24, s22, 0x80
	s_add_co_i32 s25, s22, 0x100
	;; [unrolled: 1-line block ×3, first 2 shown]
	s_mov_b32 s26, s24
	s_mov_b32 s27, s25
	;; [unrolled: 1-line block ×5, first 2 shown]
.LBB10_26:                              ;   Parent Loop BB10_6 Depth=1
                                        ; =>  This Inner Loop Header: Depth=2
	v_dual_add_nc_u32 v21, s22, v10 :: v_dual_add_nc_u32 v32, s22, v11
	v_dual_add_nc_u32 v33, s26, v11 :: v_dual_add_nc_u32 v34, s24, v10
	s_add_co_i32 s31, s31, 8
	s_clause 0x1
	flat_load_b64 v[26:27], v21, s[8:9] scale_offset
	flat_load_b64 v[28:29], v32, s[8:9] scale_offset
	ds_load_2addr_stride64_b64 v[22:25], v13 offset1:1
	s_wait_dscnt 0x0
	v_dual_mov_b32 v31, v24 :: v_dual_mov_b32 v24, v23
	v_mov_b32_e32 v30, v22
	s_delay_alu instid0(VALU_DEP_2) | instskip(SKIP_1) | instid1(VALU_DEP_2)
	v_pk_mul_f32 v[22:23], v[8:9], v[24:25]
	v_pk_mul_f32 v[24:25], v[6:7], v[24:25]
	v_pk_fma_f32 v[22:23], v[6:7], v[30:31], v[22:23] neg_lo:[0,0,1] neg_hi:[0,0,1]
	s_delay_alu instid0(VALU_DEP_2) | instskip(SKIP_3) | instid1(VALU_DEP_2)
	v_pk_fma_f32 v[24:25], v[8:9], v[30:31], v[24:25]
	s_wait_loadcnt 0x0
	v_dual_mov_b32 v30, v26 :: v_dual_mov_b32 v31, v28
	v_mov_b32_e32 v28, v27
	v_pk_add_f32 v[22:23], v[30:31], v[22:23]
	s_delay_alu instid0(VALU_DEP_2) | instskip(NEXT) | instid1(VALU_DEP_1)
	v_pk_add_f32 v[24:25], v[24:25], v[28:29]
	v_dual_mov_b32 v26, v22 :: v_dual_mov_b32 v27, v24
	s_delay_alu instid0(VALU_DEP_3)
	v_mov_b32_e32 v24, v23
	s_clause 0x3
	flat_store_b64 v21, v[26:27], s[8:9] scale_offset
	flat_store_b64 v32, v[24:25], s[8:9] scale_offset
	flat_load_b64 v[26:27], v34, s[8:9] scale_offset
	flat_load_b64 v[28:29], v33, s[8:9] scale_offset
	s_wait_xcnt 0x2
	ds_load_2addr_stride64_b64 v[22:25], v13 offset0:2 offset1:3
	v_dual_add_nc_u32 v32, s25, v10 :: v_dual_add_nc_u32 v21, s27, v11
	s_wait_dscnt 0x0
	v_dual_mov_b32 v31, v24 :: v_dual_mov_b32 v24, v23
	v_mov_b32_e32 v30, v22
	s_delay_alu instid0(VALU_DEP_2) | instskip(SKIP_1) | instid1(VALU_DEP_2)
	v_pk_mul_f32 v[22:23], v[8:9], v[24:25]
	v_pk_mul_f32 v[24:25], v[6:7], v[24:25]
	v_pk_fma_f32 v[22:23], v[6:7], v[30:31], v[22:23] neg_lo:[0,0,1] neg_hi:[0,0,1]
	s_delay_alu instid0(VALU_DEP_2) | instskip(SKIP_2) | instid1(VALU_DEP_1)
	v_pk_fma_f32 v[24:25], v[8:9], v[30:31], v[24:25]
	s_wait_loadcnt 0x0
	v_dual_mov_b32 v30, v26 :: v_dual_mov_b32 v31, v28
	v_pk_add_f32 v[22:23], v[30:31], v[22:23]
	s_delay_alu instid0(VALU_DEP_1) | instskip(NEXT) | instid1(VALU_DEP_1)
	v_dual_mov_b32 v28, v27 :: v_dual_mov_b32 v26, v22
	v_pk_add_f32 v[24:25], v[24:25], v[28:29]
	s_delay_alu instid0(VALU_DEP_1)
	v_dual_mov_b32 v27, v24 :: v_dual_mov_b32 v24, v23
	s_clause 0x3
	flat_store_b64 v34, v[26:27], s[8:9] scale_offset
	flat_store_b64 v33, v[24:25], s[8:9] scale_offset
	flat_load_b64 v[26:27], v32, s[8:9] scale_offset
	flat_load_b64 v[28:29], v21, s[8:9] scale_offset
	s_wait_xcnt 0x2
	ds_load_2addr_stride64_b64 v[22:25], v13 offset0:4 offset1:5
	v_dual_add_nc_u32 v33, s30, v11 :: v_dual_add_nc_u32 v34, s28, v10
	v_add_nc_u32_e32 v10, 0x200, v10
	v_add_nc_u32_e32 v11, 0x200, v11
	s_wait_dscnt 0x0
	v_dual_mov_b32 v31, v24 :: v_dual_mov_b32 v24, v23
	v_mov_b32_e32 v30, v22
	s_delay_alu instid0(VALU_DEP_2) | instskip(SKIP_1) | instid1(VALU_DEP_2)
	v_pk_mul_f32 v[22:23], v[8:9], v[24:25]
	v_pk_mul_f32 v[24:25], v[6:7], v[24:25]
	v_pk_fma_f32 v[22:23], v[6:7], v[30:31], v[22:23] neg_lo:[0,0,1] neg_hi:[0,0,1]
	s_delay_alu instid0(VALU_DEP_2) | instskip(SKIP_3) | instid1(VALU_DEP_2)
	v_pk_fma_f32 v[24:25], v[8:9], v[30:31], v[24:25]
	s_wait_loadcnt 0x0
	v_dual_mov_b32 v30, v26 :: v_dual_mov_b32 v31, v28
	v_mov_b32_e32 v28, v27
	v_pk_add_f32 v[22:23], v[30:31], v[22:23]
	s_delay_alu instid0(VALU_DEP_2) | instskip(NEXT) | instid1(VALU_DEP_1)
	v_pk_add_f32 v[24:25], v[24:25], v[28:29]
	v_dual_mov_b32 v26, v22 :: v_dual_mov_b32 v27, v24
	s_delay_alu instid0(VALU_DEP_3)
	v_mov_b32_e32 v24, v23
	s_clause 0x3
	flat_store_b64 v32, v[26:27], s[8:9] scale_offset
	flat_store_b64 v21, v[24:25], s[8:9] scale_offset
	flat_load_b64 v[26:27], v34, s[8:9] scale_offset
	flat_load_b64 v[28:29], v33, s[8:9] scale_offset
	s_wait_xcnt 0x2
	ds_load_2addr_stride64_b64 v[22:25], v13 offset0:6 offset1:7
	v_mov_b32_e32 v21, s31
	v_add_nc_u32_e32 v13, 0x1000, v13
	s_wait_dscnt 0x0
	v_dual_mov_b32 v31, v24 :: v_dual_mov_b32 v24, v23
	v_mov_b32_e32 v30, v22
	s_delay_alu instid0(VALU_DEP_2) | instskip(SKIP_1) | instid1(VALU_DEP_2)
	v_pk_mul_f32 v[22:23], v[8:9], v[24:25]
	v_pk_mul_f32 v[24:25], v[6:7], v[24:25]
	v_pk_fma_f32 v[22:23], v[6:7], v[30:31], v[22:23] neg_lo:[0,0,1] neg_hi:[0,0,1]
	s_delay_alu instid0(VALU_DEP_2) | instskip(SKIP_3) | instid1(VALU_DEP_2)
	v_pk_fma_f32 v[24:25], v[8:9], v[30:31], v[24:25]
	s_wait_loadcnt 0x0
	v_dual_mov_b32 v30, v26 :: v_dual_mov_b32 v31, v28
	v_mov_b32_e32 v28, v27
	v_pk_add_f32 v[22:23], v[30:31], v[22:23]
	v_add_nc_u32_e32 v12, -4, v12
	s_delay_alu instid0(VALU_DEP_3) | instskip(NEXT) | instid1(VALU_DEP_3)
	v_pk_add_f32 v[24:25], v[24:25], v[28:29]
	v_mov_b32_e32 v26, v22
	s_delay_alu instid0(VALU_DEP_3) | instskip(NEXT) | instid1(VALU_DEP_3)
	v_cmp_eq_u32_e32 vcc_lo, 0, v12
	v_dual_mov_b32 v27, v24 :: v_dual_mov_b32 v24, v23
	s_clause 0x1
	flat_store_b64 v34, v[26:27], s[8:9] scale_offset
	flat_store_b64 v33, v[24:25], s[8:9] scale_offset
	s_or_b32 s29, vcc_lo, s29
	s_wait_xcnt 0x0
	s_and_not1_b32 exec_lo, exec_lo, s29
	s_cbranch_execnz .LBB10_26
; %bb.27:                               ;   in Loop: Header=BB10_6 Depth=1
	s_or_b32 exec_lo, exec_lo, s29
.LBB10_28:                              ;   in Loop: Header=BB10_6 Depth=1
	s_delay_alu instid0(SALU_CYCLE_1)
	s_or_b32 exec_lo, exec_lo, s23
	s_and_saveexec_b32 s23, s6
	s_cbranch_execz .LBB10_31
; %bb.29:                               ;   in Loop: Header=BB10_6 Depth=1
	v_lshl_or_b32 v12, v21, 9, v2
	v_mov_b32_e32 v13, v17
	s_mov_b32 s24, 0
.LBB10_30:                              ;   Parent Loop BB10_6 Depth=1
                                        ; =>  This Inner Loop Header: Depth=2
	v_dual_add_nc_u32 v21, s22, v10 :: v_dual_add_nc_u32 v32, s22, v11
	v_add_nc_u32_e32 v10, 0x80, v10
	s_clause 0x1
	flat_load_b64 v[26:27], v21, s[8:9] scale_offset
	flat_load_b64 v[28:29], v32, s[8:9] scale_offset
	ds_load_2addr_stride64_b64 v[22:25], v12 offset1:1
	s_wait_dscnt 0x0
	v_dual_mov_b32 v31, v24 :: v_dual_add_nc_u32 v12, 0x400, v12
	v_dual_mov_b32 v24, v23 :: v_dual_mov_b32 v30, v22
	s_delay_alu instid0(VALU_DEP_1) | instskip(SKIP_1) | instid1(VALU_DEP_2)
	v_pk_mul_f32 v[22:23], v[8:9], v[24:25]
	v_pk_mul_f32 v[24:25], v[6:7], v[24:25]
	v_pk_fma_f32 v[22:23], v[6:7], v[30:31], v[22:23] neg_lo:[0,0,1] neg_hi:[0,0,1]
	s_delay_alu instid0(VALU_DEP_2) | instskip(SKIP_3) | instid1(VALU_DEP_2)
	v_pk_fma_f32 v[24:25], v[8:9], v[30:31], v[24:25]
	s_wait_loadcnt 0x0
	v_dual_mov_b32 v30, v26 :: v_dual_mov_b32 v31, v28
	v_mov_b32_e32 v28, v27
	v_pk_add_f32 v[22:23], v[30:31], v[22:23]
	s_delay_alu instid0(VALU_DEP_2) | instskip(SKIP_1) | instid1(VALU_DEP_3)
	v_pk_add_f32 v[24:25], v[24:25], v[28:29]
	v_add_nc_u32_e32 v13, -1, v13
	v_dual_mov_b32 v26, v22 :: v_dual_add_nc_u32 v11, 0x80, v11
	s_delay_alu instid0(VALU_DEP_3) | instskip(NEXT) | instid1(VALU_DEP_3)
	v_mov_b32_e32 v27, v24
	v_cmp_eq_u32_e32 vcc_lo, 0, v13
	v_mov_b32_e32 v24, v23
	s_clause 0x1
	flat_store_b64 v21, v[26:27], s[8:9] scale_offset
	flat_store_b64 v32, v[24:25], s[8:9] scale_offset
	s_or_b32 s24, vcc_lo, s24
	s_wait_xcnt 0x0
	s_and_not1_b32 exec_lo, exec_lo, s24
	s_cbranch_execnz .LBB10_30
.LBB10_31:                              ;   in Loop: Header=BB10_6 Depth=1
	s_or_b32 exec_lo, exec_lo, s23
	s_mov_b32 s22, 0
	s_and_saveexec_b32 s23, s5
	s_delay_alu instid0(SALU_CYCLE_1)
	s_xor_b32 s23, exec_lo, s23
; %bb.32:                               ;   in Loop: Header=BB10_6 Depth=1
	s_mov_b32 s22, exec_lo
; %bb.33:                               ;   in Loop: Header=BB10_6 Depth=1
	s_or_b32 exec_lo, exec_lo, s23
	v_mov_b32_e32 v21, v20
	s_and_b32 s22, s22, exec_lo
	s_or_saveexec_b32 s21, s21
	v_mov_b32_e32 v10, v18
	s_xor_b32 exec_lo, exec_lo, s21
	s_cbranch_execz .LBB10_23
.LBB10_34:                              ;   in Loop: Header=BB10_6 Depth=1
	v_dual_mov_b32 v10, v0 :: v_dual_mov_b32 v21, v2
	s_or_b32 s22, s22, exec_lo
	s_or_b32 exec_lo, exec_lo, s21
	s_delay_alu instid0(SALU_CYCLE_1)
	s_and_b32 exec_lo, exec_lo, s22
	s_cbranch_execz .LBB10_5
.LBB10_35:                              ;   in Loop: Header=BB10_6 Depth=1
	v_dual_ashrrev_i32 v11, 31, v10 :: v_dual_mov_b32 v9, v8
	s_add_nc_u64 s[16:17], s[8:9], s[16:17]
	v_mov_b32_e32 v7, v6
	s_delay_alu instid0(VALU_DEP_2)
	v_lshl_add_u64 v[12:13], v[10:11], 3, s[16:17]
	s_mov_b32 s16, 0
.LBB10_36:                              ;   Parent Loop BB10_6 Depth=1
                                        ; =>  This Inner Loop Header: Depth=2
	flat_load_b64 v[22:23], v[12:13]
	ds_load_b64 v[24:25], v21
	v_add_nc_u32_e32 v21, 0x200, v21
	v_add_nc_u32_e32 v10, 64, v10
	s_delay_alu instid0(VALU_DEP_1) | instskip(SKIP_3) | instid1(VALU_DEP_1)
	v_cmp_le_i32_e32 vcc_lo, s12, v10
	s_or_b32 s16, vcc_lo, s16
	s_wait_dscnt 0x0
	v_pk_mul_f32 v[26:27], v[8:9], v[24:25] op_sel:[0,1] op_sel_hi:[1,0]
	v_pk_fma_f32 v[28:29], v[6:7], v[24:25], v[26:27]
	v_pk_fma_f32 v[24:25], v[6:7], v[24:25], v[26:27] neg_lo:[0,0,1] neg_hi:[0,0,1]
	s_delay_alu instid0(VALU_DEP_2) | instskip(SKIP_1) | instid1(VALU_DEP_1)
	v_mov_b32_e32 v25, v29
	s_wait_loadcnt 0x0
	v_pk_add_f32 v[22:23], v[22:23], v[24:25]
	flat_store_b64 v[12:13], v[22:23]
	s_wait_xcnt 0x0
	v_add_nc_u64_e32 v[12:13], 0x200, v[12:13]
	s_and_not1_b32 exec_lo, exec_lo, s16
	s_cbranch_execnz .LBB10_36
	s_branch .LBB10_5
.LBB10_37:
	s_endpgm
	.section	.rodata,"a",@progbits
	.p2align	6, 0x0
	.amdhsa_kernel _ZN9rocsolver6v33100L22larf_left_kernel_smallILi64E19rocblas_complex_numIfEiPKPS3_EEvT1_S7_T2_lS7_lPKT0_lS8_lS7_l
		.amdhsa_group_segment_fixed_size 16896
		.amdhsa_private_segment_fixed_size 0
		.amdhsa_kernarg_size 88
		.amdhsa_user_sgpr_count 2
		.amdhsa_user_sgpr_dispatch_ptr 0
		.amdhsa_user_sgpr_queue_ptr 0
		.amdhsa_user_sgpr_kernarg_segment_ptr 1
		.amdhsa_user_sgpr_dispatch_id 0
		.amdhsa_user_sgpr_kernarg_preload_length 0
		.amdhsa_user_sgpr_kernarg_preload_offset 0
		.amdhsa_user_sgpr_private_segment_size 0
		.amdhsa_wavefront_size32 1
		.amdhsa_uses_dynamic_stack 0
		.amdhsa_enable_private_segment 0
		.amdhsa_system_sgpr_workgroup_id_x 1
		.amdhsa_system_sgpr_workgroup_id_y 1
		.amdhsa_system_sgpr_workgroup_id_z 0
		.amdhsa_system_sgpr_workgroup_info 0
		.amdhsa_system_vgpr_workitem_id 0
		.amdhsa_next_free_vgpr 113
		.amdhsa_next_free_sgpr 32
		.amdhsa_named_barrier_count 0
		.amdhsa_reserve_vcc 1
		.amdhsa_float_round_mode_32 0
		.amdhsa_float_round_mode_16_64 0
		.amdhsa_float_denorm_mode_32 3
		.amdhsa_float_denorm_mode_16_64 3
		.amdhsa_fp16_overflow 0
		.amdhsa_memory_ordered 1
		.amdhsa_forward_progress 1
		.amdhsa_inst_pref_size 22
		.amdhsa_round_robin_scheduling 0
		.amdhsa_exception_fp_ieee_invalid_op 0
		.amdhsa_exception_fp_denorm_src 0
		.amdhsa_exception_fp_ieee_div_zero 0
		.amdhsa_exception_fp_ieee_overflow 0
		.amdhsa_exception_fp_ieee_underflow 0
		.amdhsa_exception_fp_ieee_inexact 0
		.amdhsa_exception_int_div_zero 0
	.end_amdhsa_kernel
	.section	.text._ZN9rocsolver6v33100L22larf_left_kernel_smallILi64E19rocblas_complex_numIfEiPKPS3_EEvT1_S7_T2_lS7_lPKT0_lS8_lS7_l,"axG",@progbits,_ZN9rocsolver6v33100L22larf_left_kernel_smallILi64E19rocblas_complex_numIfEiPKPS3_EEvT1_S7_T2_lS7_lPKT0_lS8_lS7_l,comdat
.Lfunc_end10:
	.size	_ZN9rocsolver6v33100L22larf_left_kernel_smallILi64E19rocblas_complex_numIfEiPKPS3_EEvT1_S7_T2_lS7_lPKT0_lS8_lS7_l, .Lfunc_end10-_ZN9rocsolver6v33100L22larf_left_kernel_smallILi64E19rocblas_complex_numIfEiPKPS3_EEvT1_S7_T2_lS7_lPKT0_lS8_lS7_l
                                        ; -- End function
	.set _ZN9rocsolver6v33100L22larf_left_kernel_smallILi64E19rocblas_complex_numIfEiPKPS3_EEvT1_S7_T2_lS7_lPKT0_lS8_lS7_l.num_vgpr, 35
	.set _ZN9rocsolver6v33100L22larf_left_kernel_smallILi64E19rocblas_complex_numIfEiPKPS3_EEvT1_S7_T2_lS7_lPKT0_lS8_lS7_l.num_agpr, 0
	.set _ZN9rocsolver6v33100L22larf_left_kernel_smallILi64E19rocblas_complex_numIfEiPKPS3_EEvT1_S7_T2_lS7_lPKT0_lS8_lS7_l.numbered_sgpr, 32
	.set _ZN9rocsolver6v33100L22larf_left_kernel_smallILi64E19rocblas_complex_numIfEiPKPS3_EEvT1_S7_T2_lS7_lPKT0_lS8_lS7_l.num_named_barrier, 0
	.set _ZN9rocsolver6v33100L22larf_left_kernel_smallILi64E19rocblas_complex_numIfEiPKPS3_EEvT1_S7_T2_lS7_lPKT0_lS8_lS7_l.private_seg_size, 0
	.set _ZN9rocsolver6v33100L22larf_left_kernel_smallILi64E19rocblas_complex_numIfEiPKPS3_EEvT1_S7_T2_lS7_lPKT0_lS8_lS7_l.uses_vcc, 1
	.set _ZN9rocsolver6v33100L22larf_left_kernel_smallILi64E19rocblas_complex_numIfEiPKPS3_EEvT1_S7_T2_lS7_lPKT0_lS8_lS7_l.uses_flat_scratch, 1
	.set _ZN9rocsolver6v33100L22larf_left_kernel_smallILi64E19rocblas_complex_numIfEiPKPS3_EEvT1_S7_T2_lS7_lPKT0_lS8_lS7_l.has_dyn_sized_stack, 0
	.set _ZN9rocsolver6v33100L22larf_left_kernel_smallILi64E19rocblas_complex_numIfEiPKPS3_EEvT1_S7_T2_lS7_lPKT0_lS8_lS7_l.has_recursion, 0
	.set _ZN9rocsolver6v33100L22larf_left_kernel_smallILi64E19rocblas_complex_numIfEiPKPS3_EEvT1_S7_T2_lS7_lPKT0_lS8_lS7_l.has_indirect_call, 0
	.section	.AMDGPU.csdata,"",@progbits
; Kernel info:
; codeLenInByte = 2696
; TotalNumSgprs: 34
; NumVgprs: 35
; ScratchSize: 0
; MemoryBound: 0
; FloatMode: 240
; IeeeMode: 1
; LDSByteSize: 16896 bytes/workgroup (compile time only)
; SGPRBlocks: 0
; VGPRBlocks: 7
; NumSGPRsForWavesPerEU: 34
; NumVGPRsForWavesPerEU: 113
; NamedBarCnt: 0
; Occupancy: 8
; WaveLimiterHint : 1
; COMPUTE_PGM_RSRC2:SCRATCH_EN: 0
; COMPUTE_PGM_RSRC2:USER_SGPR: 2
; COMPUTE_PGM_RSRC2:TRAP_HANDLER: 0
; COMPUTE_PGM_RSRC2:TGID_X_EN: 1
; COMPUTE_PGM_RSRC2:TGID_Y_EN: 1
; COMPUTE_PGM_RSRC2:TGID_Z_EN: 0
; COMPUTE_PGM_RSRC2:TIDIG_COMP_CNT: 0
	.section	.text._ZN9rocsolver6v33100L22larf_left_kernel_smallILi128E19rocblas_complex_numIfEiPKPS3_EEvT1_S7_T2_lS7_lPKT0_lS8_lS7_l,"axG",@progbits,_ZN9rocsolver6v33100L22larf_left_kernel_smallILi128E19rocblas_complex_numIfEiPKPS3_EEvT1_S7_T2_lS7_lPKT0_lS8_lS7_l,comdat
	.globl	_ZN9rocsolver6v33100L22larf_left_kernel_smallILi128E19rocblas_complex_numIfEiPKPS3_EEvT1_S7_T2_lS7_lPKT0_lS8_lS7_l ; -- Begin function _ZN9rocsolver6v33100L22larf_left_kernel_smallILi128E19rocblas_complex_numIfEiPKPS3_EEvT1_S7_T2_lS7_lPKT0_lS8_lS7_l
	.p2align	8
	.type	_ZN9rocsolver6v33100L22larf_left_kernel_smallILi128E19rocblas_complex_numIfEiPKPS3_EEvT1_S7_T2_lS7_lPKT0_lS8_lS7_l,@function
_ZN9rocsolver6v33100L22larf_left_kernel_smallILi128E19rocblas_complex_numIfEiPKPS3_EEvT1_S7_T2_lS7_lPKT0_lS8_lS7_l: ; @_ZN9rocsolver6v33100L22larf_left_kernel_smallILi128E19rocblas_complex_numIfEiPKPS3_EEvT1_S7_T2_lS7_lPKT0_lS8_lS7_l
; %bb.0:
	s_load_b256 s[4:11], s[0:1], 0x28
	s_bfe_u32 s2, ttmp6, 0x4000c
	s_and_b32 s12, ttmp6, 15
	s_add_co_i32 s2, s2, 1
	s_getreg_b32 s3, hwreg(HW_REG_IB_STS2, 6, 4)
	s_mul_i32 s2, ttmp9, s2
	v_lshlrev_b32_e32 v2, 3, v0
	s_add_co_i32 s12, s12, s2
	s_cmp_eq_u32 s3, 0
	s_mov_b32 s19, 0
	s_cselect_b32 s14, ttmp9, s12
	s_load_b64 s[12:13], s[0:1], 0x0
	s_ashr_i32 s15, s14, 31
	s_delay_alu instid0(SALU_CYCLE_1)
	s_lshl_b64 s[16:17], s[14:15], 3
	s_wait_kmcnt 0x0
	s_add_nc_u64 s[8:9], s[8:9], s[16:17]
	s_load_b64 s[8:9], s[8:9], 0x0
	v_cmp_gt_i32_e64 s2, s12, v0
	s_and_saveexec_b32 s18, s2
	s_cbranch_execz .LBB11_3
; %bb.1:
	s_clause 0x1
	s_load_b128 s[20:23], s[0:1], 0x8
	s_load_b32 s24, s[0:1], 0x18
	s_sub_co_i32 s25, 1, s12
	v_dual_mov_b32 v4, v0 :: v_dual_lshlrev_b32 v3, 3, v0
	s_wait_kmcnt 0x0
	s_add_nc_u64 s[16:17], s[20:21], s[16:17]
	s_lshl_b64 s[20:21], s[22:23], 3
	s_load_b64 s[16:17], s[16:17], 0x0
	s_mul_i32 s22, s24, s25
	s_cmp_lt_i32 s24, 1
	s_cselect_b32 s22, s22, 0
	s_delay_alu instid0(SALU_CYCLE_1)
	v_mad_u32 v1, v0, s24, s22
	s_wait_kmcnt 0x0
	s_add_nc_u64 s[16:17], s[16:17], s[20:21]
	s_lshl_b32 s20, s24, 7
.LBB11_2:                               ; =>This Inner Loop Header: Depth=1
	flat_load_b64 v[6:7], v1, s[16:17] scale_offset
	v_add_nc_u32_e32 v4, 0x80, v4
	s_wait_xcnt 0x0
	v_add_nc_u32_e32 v1, s20, v1
	s_delay_alu instid0(VALU_DEP_2)
	v_cmp_le_i32_e32 vcc_lo, s12, v4
	s_or_b32 s19, vcc_lo, s19
	s_wait_loadcnt_dscnt 0x0
	ds_store_b64 v3, v[6:7]
	v_add_nc_u32_e32 v3, 0x400, v3
	s_and_not1_b32 exec_lo, exec_lo, s19
	s_cbranch_execnz .LBB11_2
.LBB11_3:
	s_or_b32 exec_lo, exec_lo, s18
	s_bfe_u32 s16, ttmp6, 0x40010
	s_bfe_u32 s17, ttmp6, 0x40004
	s_add_co_i32 s16, s16, 1
	s_wait_dscnt 0x0
	s_mul_i32 s16, ttmp7, s16
	s_barrier_signal -1
	s_add_co_i32 s17, s17, s16
	s_cmp_eq_u32 s3, 0
	s_barrier_wait -1
	s_cselect_b32 s18, ttmp7, s17
	s_delay_alu instid0(SALU_CYCLE_1)
	s_cmp_ge_i32 s18, s13
	s_cbranch_scc1 .LBB11_37
; %bb.4:
	v_xad_u32 v6, v0, -1, s12
	v_and_b32_e32 v7, 31, v0
	s_load_b32 s19, s[0:1], 0x48
	v_dual_lshrrev_b32 v9, 2, v0 :: v_dual_mov_b32 v3, 0
	s_delay_alu instid0(VALU_DEP_3)
	v_lshrrev_b32_e32 v8, 7, v6
	s_lshl_b64 s[10:11], s[10:11], 3
	s_wait_xcnt 0x0
	v_cmp_eq_u32_e64 s1, 0, v7
	s_wait_kmcnt 0x0
	s_add_nc_u64 s[8:9], s[8:9], s[10:11]
	v_cmp_lt_u32_e64 s3, 0x7f, v6
	v_dual_add_nc_u32 v10, -1, v8 :: v_dual_add_nc_u32 v8, 1, v8
	v_add_nc_u64_e32 v[4:5], s[8:9], v[2:3]
	v_mbcnt_lo_u32_b32 v14, -1, 0
	s_mul_u64 s[6:7], s[6:7], s[14:15]
	s_delay_alu instid0(VALU_DEP_3)
	v_lshrrev_b32_e32 v11, 1, v10
	v_and_b32_e32 v6, 0x3fffffe, v8
	s_lshl_b64 s[6:7], s[6:7], 3
	v_cmp_eq_u32_e64 s0, 0, v0
	v_add_nc_u64_e32 v[4:5], 4, v[4:5]
	v_dual_mov_b32 v20, 0x4008 :: v_dual_add_nc_u32 v7, 1, v11
	v_lshl_or_b32 v17, v6, 7, v0
	v_or_b32_e32 v1, 0x80, v0
	s_add_nc_u64 s[10:11], s[4:5], s[6:7]
	s_delay_alu instid0(VALU_DEP_3)
	v_and_b32_e32 v16, 3, v7
	v_lshl_or_b32 v15, v14, 2, 64
	v_cmp_lt_u32_e64 s4, 5, v10
	v_cmp_ne_u32_e64 s5, v8, v6
	v_dual_lshlrev_b32 v21, 3, v17 :: v_dual_bitop2_b32 v18, -4, v7 bitop3:0x40
	v_cmp_ne_u32_e64 s6, 0, v16
	v_or_b32_e32 v19, 0x4000, v9
	s_cmp_gt_i32 s12, 1
	s_mul_i32 s14, s18, s19
	s_cselect_b32 s7, -1, 0
	s_lshl_b32 s20, s19, 6
	s_branch .LBB11_6
.LBB11_5:                               ;   in Loop: Header=BB11_6 Depth=1
	s_or_b32 exec_lo, exec_lo, s15
	s_add_co_i32 s18, s18, 64
	s_add_co_i32 s14, s14, s20
	s_cmp_ge_i32 s18, s13
	s_cbranch_scc1 .LBB11_37
.LBB11_6:                               ; =>This Loop Header: Depth=1
                                        ;     Child Loop BB11_8 Depth 2
                                        ;     Child Loop BB11_26 Depth 2
	;; [unrolled: 1-line block ×4, first 2 shown]
	v_mov_b64_e32 v[6:7], 0
	s_ashr_i32 s15, s14, 31
	s_delay_alu instid0(SALU_CYCLE_1)
	s_lshl_b64 s[16:17], s[14:15], 3
	s_and_saveexec_b32 s15, s2
	s_cbranch_execz .LBB11_10
; %bb.7:                                ;   in Loop: Header=BB11_6 Depth=1
	v_dual_mov_b32 v7, 0 :: v_dual_mov_b32 v10, v2
	v_add_nc_u64_e32 v[8:9], s[16:17], v[4:5]
	v_mov_b32_e32 v11, v0
	s_mov_b32 s21, 0
	s_delay_alu instid0(VALU_DEP_3)
	v_mov_b32_e32 v6, v7
.LBB11_8:                               ;   Parent Loop BB11_6 Depth=1
                                        ; =>  This Inner Loop Header: Depth=2
	flat_load_b64 v[12:13], v[8:9] offset:-4
	ds_load_b64 v[22:23], v10
	s_wait_xcnt 0x0
	v_add_nc_u64_e32 v[8:9], 0x400, v[8:9]
	v_add_nc_u32_e32 v10, 0x400, v10
	s_wait_loadcnt_dscnt 0x0
	v_dual_mul_f32 v24, v13, v23 :: v_dual_mul_f32 v13, v13, v22
	s_delay_alu instid0(VALU_DEP_1) | instskip(NEXT) | instid1(VALU_DEP_2)
	v_dual_fmac_f32 v24, v12, v22 :: v_dual_add_nc_u32 v11, 0x80, v11
	v_fma_f32 v25, v12, v23, -v13
	s_delay_alu instid0(VALU_DEP_2) | instskip(NEXT) | instid1(VALU_DEP_2)
	v_cmp_le_i32_e32 vcc_lo, s12, v11
	v_pk_add_f32 v[6:7], v[6:7], v[24:25]
	s_or_b32 s21, vcc_lo, s21
	s_delay_alu instid0(SALU_CYCLE_1)
	s_and_not1_b32 exec_lo, exec_lo, s21
	s_cbranch_execnz .LBB11_8
; %bb.9:                                ;   in Loop: Header=BB11_6 Depth=1
	s_or_b32 exec_lo, exec_lo, s21
.LBB11_10:                              ;   in Loop: Header=BB11_6 Depth=1
	s_delay_alu instid0(SALU_CYCLE_1) | instskip(NEXT) | instid1(SALU_CYCLE_1)
	s_or_b32 exec_lo, exec_lo, s15
	s_and_b32 vcc_lo, exec_lo, s7
	s_cbranch_vccz .LBB11_17
; %bb.11:                               ;   in Loop: Header=BB11_6 Depth=1
	v_cmp_ne_u32_e32 vcc_lo, 31, v14
	v_add_co_ci_u32_e64 v8, null, 0, v14, vcc_lo
	v_cmp_gt_u32_e32 vcc_lo, 30, v14
	s_delay_alu instid0(VALU_DEP_2)
	v_lshlrev_b32_e32 v9, 2, v8
	v_cndmask_b32_e64 v10, 0, 2, vcc_lo
	v_cmp_gt_u32_e32 vcc_lo, 28, v14
	ds_bpermute_b32 v8, v9, v6
	ds_bpermute_b32 v9, v9, v7
	v_add_lshl_u32 v11, v10, v14, 2
	v_cndmask_b32_e64 v12, 0, 4, vcc_lo
	v_cmp_gt_u32_e32 vcc_lo, 24, v14
	s_delay_alu instid0(VALU_DEP_2)
	v_add_lshl_u32 v12, v12, v14, 2
	s_wait_dscnt 0x0
	v_pk_add_f32 v[8:9], v[6:7], v[8:9]
	ds_bpermute_b32 v10, v11, v8
	ds_bpermute_b32 v11, v11, v9
	s_wait_dscnt 0x0
	v_pk_add_f32 v[8:9], v[8:9], v[10:11]
	ds_bpermute_b32 v10, v12, v8
	ds_bpermute_b32 v11, v12, v9
	v_cndmask_b32_e64 v12, 0, 8, vcc_lo
	s_delay_alu instid0(VALU_DEP_1)
	v_add_lshl_u32 v12, v12, v14, 2
	s_wait_dscnt 0x0
	v_pk_add_f32 v[8:9], v[8:9], v[10:11]
	ds_bpermute_b32 v10, v12, v8
	ds_bpermute_b32 v11, v12, v9
	s_wait_dscnt 0x0
	v_pk_add_f32 v[8:9], v[8:9], v[10:11]
	ds_bpermute_b32 v10, v15, v8
	ds_bpermute_b32 v11, v15, v9
	s_wait_dscnt 0x0
	v_pk_add_f32 v[8:9], v[8:9], v[10:11]
	s_and_saveexec_b32 s15, s1
; %bb.12:                               ;   in Loop: Header=BB11_6 Depth=1
	ds_store_2addr_b32 v19, v8, v9 offset1:1
; %bb.13:                               ;   in Loop: Header=BB11_6 Depth=1
	s_or_b32 exec_lo, exec_lo, s15
	s_mov_b32 s21, 0
	s_mov_b32 s15, 0
	s_wait_dscnt 0x0
	s_barrier_signal -1
	s_barrier_wait -1
                                        ; implicit-def: $vgpr10_vgpr11
	s_and_saveexec_b32 s22, s0
	s_delay_alu instid0(SALU_CYCLE_1)
	s_xor_b32 s22, exec_lo, s22
	s_cbranch_execz .LBB11_15
; %bb.14:                               ;   in Loop: Header=BB11_6 Depth=1
	ds_load_2addr_b64 v[10:13], v20 offset1:1
	ds_load_b64 v[22:23], v3 offset:16408
	s_mov_b32 s15, exec_lo
	s_wait_dscnt 0x1
	v_pk_add_f32 v[8:9], v[8:9], v[10:11]
	s_delay_alu instid0(VALU_DEP_1) | instskip(SKIP_1) | instid1(VALU_DEP_1)
	v_pk_add_f32 v[8:9], v[8:9], v[12:13]
	s_wait_dscnt 0x0
	v_pk_add_f32 v[10:11], v[8:9], v[22:23]
.LBB11_15:                              ;   in Loop: Header=BB11_6 Depth=1
	s_or_b32 exec_lo, exec_lo, s22
	s_delay_alu instid0(SALU_CYCLE_1)
	s_and_b32 vcc_lo, exec_lo, s21
	s_cbranch_vccnz .LBB11_18
.LBB11_16:                              ;   in Loop: Header=BB11_6 Depth=1
	s_delay_alu instid0(VALU_DEP_1)
	v_mov_b64_e32 v[6:7], v[10:11]
	s_and_saveexec_b32 s21, s15
	s_cbranch_execnz .LBB11_19
	s_branch .LBB11_20
.LBB11_17:                              ;   in Loop: Header=BB11_6 Depth=1
	s_mov_b32 s15, 0
                                        ; implicit-def: $vgpr10_vgpr11
	s_cbranch_execz .LBB11_16
.LBB11_18:                              ;   in Loop: Header=BB11_6 Depth=1
	s_and_not1_b32 s15, s15, exec_lo
	s_and_b32 s21, s0, exec_lo
	s_delay_alu instid0(SALU_CYCLE_1) | instskip(NEXT) | instid1(SALU_CYCLE_1)
	s_or_b32 s15, s15, s21
	s_and_saveexec_b32 s21, s15
.LBB11_19:                              ;   in Loop: Header=BB11_6 Depth=1
	ds_store_b64 v3, v[6:7] offset:16384
.LBB11_20:                              ;   in Loop: Header=BB11_6 Depth=1
	s_or_b32 exec_lo, exec_lo, s21
	s_wait_dscnt 0x0
	s_barrier_signal -1
	s_barrier_wait -1
	s_and_saveexec_b32 s15, s2
	s_cbranch_execz .LBB11_5
; %bb.21:                               ;   in Loop: Header=BB11_6 Depth=1
	global_load_b64 v[10:11], v3, s[10:11]
	ds_load_b64 v[12:13], v3 offset:16384
	s_mov_b32 s22, 0
                                        ; implicit-def: $vgpr22
	s_wait_loadcnt_dscnt 0x0
	v_dual_mul_f32 v6, v11, v13 :: v_dual_mul_f32 v7, v11, v12
	v_xor_b32_e32 v9, 0x80000000, v10
	s_delay_alu instid0(VALU_DEP_2) | instskip(NEXT) | instid1(VALU_DEP_3)
	v_xor_b32_e32 v6, 0x80000000, v6
	v_xor_b32_e32 v8, 0x80000000, v7
	s_delay_alu instid0(VALU_DEP_2) | instskip(NEXT) | instid1(VALU_DEP_2)
	v_fmac_f32_e32 v6, v12, v9
	v_fmac_f32_e32 v8, v10, v13
	s_wait_xcnt 0x0
	s_and_saveexec_b32 s21, s3
	s_delay_alu instid0(SALU_CYCLE_1)
	s_xor_b32 s21, exec_lo, s21
	s_cbranch_execnz .LBB11_24
; %bb.22:                               ;   in Loop: Header=BB11_6 Depth=1
	s_or_saveexec_b32 s21, s21
	v_mov_b32_e32 v10, v17
	s_xor_b32 exec_lo, exec_lo, s21
	s_cbranch_execnz .LBB11_34
.LBB11_23:                              ;   in Loop: Header=BB11_6 Depth=1
	s_or_b32 exec_lo, exec_lo, s21
	s_delay_alu instid0(SALU_CYCLE_1)
	s_and_b32 exec_lo, exec_lo, s22
	s_cbranch_execz .LBB11_5
	s_branch .LBB11_35
.LBB11_24:                              ;   in Loop: Header=BB11_6 Depth=1
	v_mov_b64_e32 v[10:11], v[0:1]
	v_dual_mov_b32 v7, v6 :: v_dual_mov_b32 v9, v8
	v_mov_b32_e32 v22, 0
	s_mul_i32 s22, s18, s19
	s_and_saveexec_b32 s23, s4
	s_cbranch_execz .LBB11_28
; %bb.25:                               ;   in Loop: Header=BB11_6 Depth=1
	v_mov_b64_e32 v[10:11], v[0:1]
	v_dual_mov_b32 v12, v18 :: v_dual_mov_b32 v13, v2
	s_add_co_i32 s24, s22, 0x100
	s_add_co_i32 s25, s22, 0x200
	;; [unrolled: 1-line block ×3, first 2 shown]
	s_mov_b32 s26, s24
	s_mov_b32 s27, s25
	;; [unrolled: 1-line block ×5, first 2 shown]
.LBB11_26:                              ;   Parent Loop BB11_6 Depth=1
                                        ; =>  This Inner Loop Header: Depth=2
	v_dual_add_nc_u32 v32, s22, v10 :: v_dual_add_nc_u32 v33, s22, v11
	v_dual_add_nc_u32 v34, s26, v11 :: v_dual_add_nc_u32 v35, s24, v10
	s_add_co_i32 s31, s31, 8
	s_clause 0x1
	flat_load_b64 v[26:27], v32, s[8:9] scale_offset
	flat_load_b64 v[28:29], v33, s[8:9] scale_offset
	ds_load_2addr_stride64_b64 v[22:25], v13 offset1:2
	s_wait_dscnt 0x0
	v_dual_mov_b32 v31, v24 :: v_dual_add_nc_u32 v12, -4, v12
	v_dual_mov_b32 v24, v23 :: v_dual_mov_b32 v30, v22
	s_delay_alu instid0(VALU_DEP_1) | instskip(SKIP_1) | instid1(VALU_DEP_2)
	v_pk_mul_f32 v[22:23], v[8:9], v[24:25]
	v_pk_mul_f32 v[24:25], v[6:7], v[24:25]
	v_pk_fma_f32 v[22:23], v[6:7], v[30:31], v[22:23] neg_lo:[0,0,1] neg_hi:[0,0,1]
	s_delay_alu instid0(VALU_DEP_2) | instskip(SKIP_3) | instid1(VALU_DEP_2)
	v_pk_fma_f32 v[24:25], v[8:9], v[30:31], v[24:25]
	s_wait_loadcnt 0x0
	v_dual_mov_b32 v30, v26 :: v_dual_mov_b32 v31, v28
	v_mov_b32_e32 v28, v27
	v_pk_add_f32 v[22:23], v[30:31], v[22:23]
	s_delay_alu instid0(VALU_DEP_2) | instskip(NEXT) | instid1(VALU_DEP_1)
	v_pk_add_f32 v[24:25], v[24:25], v[28:29]
	v_dual_mov_b32 v26, v22 :: v_dual_mov_b32 v27, v24
	s_delay_alu instid0(VALU_DEP_3)
	v_mov_b32_e32 v24, v23
	s_clause 0x3
	flat_store_b64 v32, v[26:27], s[8:9] scale_offset
	flat_store_b64 v33, v[24:25], s[8:9] scale_offset
	flat_load_b64 v[26:27], v35, s[8:9] scale_offset
	flat_load_b64 v[28:29], v34, s[8:9] scale_offset
	s_wait_xcnt 0x2
	ds_load_2addr_stride64_b64 v[22:25], v13 offset0:4 offset1:6
	v_dual_add_nc_u32 v33, s25, v10 :: v_dual_add_nc_u32 v32, s27, v11
	s_wait_dscnt 0x0
	v_dual_mov_b32 v31, v24 :: v_dual_mov_b32 v24, v23
	v_mov_b32_e32 v30, v22
	s_delay_alu instid0(VALU_DEP_2) | instskip(SKIP_1) | instid1(VALU_DEP_2)
	v_pk_mul_f32 v[22:23], v[8:9], v[24:25]
	v_pk_mul_f32 v[24:25], v[6:7], v[24:25]
	v_pk_fma_f32 v[22:23], v[6:7], v[30:31], v[22:23] neg_lo:[0,0,1] neg_hi:[0,0,1]
	s_delay_alu instid0(VALU_DEP_2) | instskip(SKIP_2) | instid1(VALU_DEP_1)
	v_pk_fma_f32 v[24:25], v[8:9], v[30:31], v[24:25]
	s_wait_loadcnt 0x0
	v_dual_mov_b32 v30, v26 :: v_dual_mov_b32 v31, v28
	v_pk_add_f32 v[22:23], v[30:31], v[22:23]
	s_delay_alu instid0(VALU_DEP_1) | instskip(NEXT) | instid1(VALU_DEP_1)
	v_dual_mov_b32 v28, v27 :: v_dual_mov_b32 v26, v22
	v_pk_add_f32 v[24:25], v[24:25], v[28:29]
	s_delay_alu instid0(VALU_DEP_1)
	v_dual_mov_b32 v27, v24 :: v_dual_mov_b32 v24, v23
	s_clause 0x3
	flat_store_b64 v35, v[26:27], s[8:9] scale_offset
	flat_store_b64 v34, v[24:25], s[8:9] scale_offset
	flat_load_b64 v[26:27], v33, s[8:9] scale_offset
	flat_load_b64 v[28:29], v32, s[8:9] scale_offset
	s_wait_xcnt 0x2
	ds_load_2addr_stride64_b64 v[22:25], v13 offset0:8 offset1:10
	v_dual_add_nc_u32 v34, s30, v11 :: v_dual_add_nc_u32 v35, s28, v10
	v_add_nc_u32_e32 v11, 0x400, v11
	s_wait_dscnt 0x0
	v_dual_mov_b32 v31, v24 :: v_dual_mov_b32 v24, v23
	v_mov_b32_e32 v30, v22
	s_delay_alu instid0(VALU_DEP_2) | instskip(SKIP_1) | instid1(VALU_DEP_2)
	v_pk_mul_f32 v[22:23], v[8:9], v[24:25]
	v_pk_mul_f32 v[24:25], v[6:7], v[24:25]
	v_pk_fma_f32 v[22:23], v[6:7], v[30:31], v[22:23] neg_lo:[0,0,1] neg_hi:[0,0,1]
	s_delay_alu instid0(VALU_DEP_2) | instskip(SKIP_3) | instid1(VALU_DEP_2)
	v_pk_fma_f32 v[24:25], v[8:9], v[30:31], v[24:25]
	s_wait_loadcnt 0x0
	v_dual_mov_b32 v30, v26 :: v_dual_mov_b32 v31, v28
	v_mov_b32_e32 v28, v27
	v_pk_add_f32 v[22:23], v[30:31], v[22:23]
	s_delay_alu instid0(VALU_DEP_2) | instskip(NEXT) | instid1(VALU_DEP_1)
	v_pk_add_f32 v[24:25], v[24:25], v[28:29]
	v_dual_mov_b32 v26, v22 :: v_dual_mov_b32 v27, v24
	s_delay_alu instid0(VALU_DEP_3)
	v_mov_b32_e32 v24, v23
	s_clause 0x3
	flat_store_b64 v33, v[26:27], s[8:9] scale_offset
	flat_store_b64 v32, v[24:25], s[8:9] scale_offset
	flat_load_b64 v[26:27], v35, s[8:9] scale_offset
	flat_load_b64 v[28:29], v34, s[8:9] scale_offset
	s_wait_xcnt 0x2
	ds_load_2addr_stride64_b64 v[22:25], v13 offset0:12 offset1:14
	v_add_nc_u32_e32 v13, 0x2000, v13
	s_wait_dscnt 0x0
	v_dual_mov_b32 v31, v24 :: v_dual_mov_b32 v24, v23
	v_mov_b32_e32 v30, v22
	s_delay_alu instid0(VALU_DEP_2) | instskip(SKIP_1) | instid1(VALU_DEP_2)
	v_pk_mul_f32 v[22:23], v[8:9], v[24:25]
	v_pk_mul_f32 v[24:25], v[6:7], v[24:25]
	v_pk_fma_f32 v[22:23], v[6:7], v[30:31], v[22:23] neg_lo:[0,0,1] neg_hi:[0,0,1]
	s_delay_alu instid0(VALU_DEP_2) | instskip(SKIP_3) | instid1(VALU_DEP_2)
	v_pk_fma_f32 v[24:25], v[8:9], v[30:31], v[24:25]
	s_wait_loadcnt 0x0
	v_dual_mov_b32 v30, v26 :: v_dual_mov_b32 v31, v28
	v_mov_b32_e32 v28, v27
	v_pk_add_f32 v[26:27], v[30:31], v[22:23]
	s_delay_alu instid0(VALU_DEP_2) | instskip(SKIP_3) | instid1(VALU_DEP_4)
	v_pk_add_f32 v[24:25], v[24:25], v[28:29]
	v_mov_b32_e32 v22, s31
	v_cmp_eq_u32_e32 vcc_lo, 0, v12
	v_add_nc_u32_e32 v10, 0x400, v10
	v_dual_mov_b32 v28, v26 :: v_dual_mov_b32 v29, v24
	v_mov_b32_e32 v24, v27
	s_or_b32 s29, vcc_lo, s29
	s_clause 0x1
	flat_store_b64 v35, v[28:29], s[8:9] scale_offset
	flat_store_b64 v34, v[24:25], s[8:9] scale_offset
	s_wait_xcnt 0x0
	s_and_not1_b32 exec_lo, exec_lo, s29
	s_cbranch_execnz .LBB11_26
; %bb.27:                               ;   in Loop: Header=BB11_6 Depth=1
	s_or_b32 exec_lo, exec_lo, s29
.LBB11_28:                              ;   in Loop: Header=BB11_6 Depth=1
	s_delay_alu instid0(SALU_CYCLE_1)
	s_or_b32 exec_lo, exec_lo, s23
	s_and_saveexec_b32 s23, s6
	s_cbranch_execz .LBB11_31
; %bb.29:                               ;   in Loop: Header=BB11_6 Depth=1
	v_lshl_or_b32 v12, v22, 10, v2
	v_mov_b32_e32 v13, v16
	s_mov_b32 s24, 0
.LBB11_30:                              ;   Parent Loop BB11_6 Depth=1
                                        ; =>  This Inner Loop Header: Depth=2
	v_dual_add_nc_u32 v32, s22, v10 :: v_dual_add_nc_u32 v33, s22, v11
	v_add_nc_u32_e32 v10, 0x100, v10
	s_clause 0x1
	flat_load_b64 v[26:27], v32, s[8:9] scale_offset
	flat_load_b64 v[28:29], v33, s[8:9] scale_offset
	ds_load_2addr_stride64_b64 v[22:25], v12 offset1:2
	s_wait_dscnt 0x0
	v_dual_mov_b32 v31, v24 :: v_dual_add_nc_u32 v12, 0x800, v12
	v_dual_mov_b32 v24, v23 :: v_dual_mov_b32 v30, v22
	s_delay_alu instid0(VALU_DEP_1) | instskip(SKIP_1) | instid1(VALU_DEP_2)
	v_pk_mul_f32 v[22:23], v[8:9], v[24:25]
	v_pk_mul_f32 v[24:25], v[6:7], v[24:25]
	v_pk_fma_f32 v[22:23], v[6:7], v[30:31], v[22:23] neg_lo:[0,0,1] neg_hi:[0,0,1]
	s_delay_alu instid0(VALU_DEP_2) | instskip(SKIP_3) | instid1(VALU_DEP_2)
	v_pk_fma_f32 v[24:25], v[8:9], v[30:31], v[24:25]
	s_wait_loadcnt 0x0
	v_dual_mov_b32 v30, v26 :: v_dual_mov_b32 v31, v28
	v_mov_b32_e32 v28, v27
	v_pk_add_f32 v[22:23], v[30:31], v[22:23]
	s_delay_alu instid0(VALU_DEP_2) | instskip(SKIP_1) | instid1(VALU_DEP_3)
	v_pk_add_f32 v[24:25], v[24:25], v[28:29]
	v_add_nc_u32_e32 v13, -1, v13
	v_dual_mov_b32 v26, v22 :: v_dual_add_nc_u32 v11, 0x100, v11
	s_delay_alu instid0(VALU_DEP_3) | instskip(NEXT) | instid1(VALU_DEP_3)
	v_mov_b32_e32 v27, v24
	v_cmp_eq_u32_e32 vcc_lo, 0, v13
	v_mov_b32_e32 v24, v23
	s_clause 0x1
	flat_store_b64 v32, v[26:27], s[8:9] scale_offset
	flat_store_b64 v33, v[24:25], s[8:9] scale_offset
	s_or_b32 s24, vcc_lo, s24
	s_wait_xcnt 0x0
	s_and_not1_b32 exec_lo, exec_lo, s24
	s_cbranch_execnz .LBB11_30
.LBB11_31:                              ;   in Loop: Header=BB11_6 Depth=1
	s_or_b32 exec_lo, exec_lo, s23
	s_mov_b32 s22, 0
	s_and_saveexec_b32 s23, s5
	s_delay_alu instid0(SALU_CYCLE_1)
	s_xor_b32 s23, exec_lo, s23
; %bb.32:                               ;   in Loop: Header=BB11_6 Depth=1
	s_mov_b32 s22, exec_lo
; %bb.33:                               ;   in Loop: Header=BB11_6 Depth=1
	s_or_b32 exec_lo, exec_lo, s23
	v_mov_b32_e32 v22, v21
	s_and_b32 s22, s22, exec_lo
	s_or_saveexec_b32 s21, s21
	v_mov_b32_e32 v10, v17
	s_xor_b32 exec_lo, exec_lo, s21
	s_cbranch_execz .LBB11_23
.LBB11_34:                              ;   in Loop: Header=BB11_6 Depth=1
	v_dual_mov_b32 v10, v0 :: v_dual_mov_b32 v22, v2
	s_or_b32 s22, s22, exec_lo
	s_or_b32 exec_lo, exec_lo, s21
	s_delay_alu instid0(SALU_CYCLE_1)
	s_and_b32 exec_lo, exec_lo, s22
	s_cbranch_execz .LBB11_5
.LBB11_35:                              ;   in Loop: Header=BB11_6 Depth=1
	v_dual_ashrrev_i32 v11, 31, v10 :: v_dual_mov_b32 v9, v8
	s_add_nc_u64 s[16:17], s[8:9], s[16:17]
	v_mov_b32_e32 v7, v6
	s_delay_alu instid0(VALU_DEP_2)
	v_lshl_add_u64 v[12:13], v[10:11], 3, s[16:17]
	s_mov_b32 s16, 0
.LBB11_36:                              ;   Parent Loop BB11_6 Depth=1
                                        ; =>  This Inner Loop Header: Depth=2
	flat_load_b64 v[24:25], v[12:13]
	ds_load_b64 v[26:27], v22
	v_add_nc_u32_e32 v22, 0x400, v22
	v_add_nc_u32_e32 v10, 0x80, v10
	s_delay_alu instid0(VALU_DEP_1) | instskip(SKIP_3) | instid1(VALU_DEP_1)
	v_cmp_le_i32_e32 vcc_lo, s12, v10
	s_or_b32 s16, vcc_lo, s16
	s_wait_dscnt 0x0
	v_pk_mul_f32 v[28:29], v[8:9], v[26:27] op_sel:[0,1] op_sel_hi:[1,0]
	v_pk_fma_f32 v[30:31], v[6:7], v[26:27], v[28:29]
	v_pk_fma_f32 v[26:27], v[6:7], v[26:27], v[28:29] neg_lo:[0,0,1] neg_hi:[0,0,1]
	s_delay_alu instid0(VALU_DEP_2) | instskip(SKIP_1) | instid1(VALU_DEP_1)
	v_mov_b32_e32 v27, v31
	s_wait_loadcnt 0x0
	v_pk_add_f32 v[24:25], v[24:25], v[26:27]
	flat_store_b64 v[12:13], v[24:25]
	s_wait_xcnt 0x0
	v_add_nc_u64_e32 v[12:13], 0x400, v[12:13]
	s_and_not1_b32 exec_lo, exec_lo, s16
	s_cbranch_execnz .LBB11_36
	s_branch .LBB11_5
.LBB11_37:
	s_endpgm
	.section	.rodata,"a",@progbits
	.p2align	6, 0x0
	.amdhsa_kernel _ZN9rocsolver6v33100L22larf_left_kernel_smallILi128E19rocblas_complex_numIfEiPKPS3_EEvT1_S7_T2_lS7_lPKT0_lS8_lS7_l
		.amdhsa_group_segment_fixed_size 17408
		.amdhsa_private_segment_fixed_size 0
		.amdhsa_kernarg_size 88
		.amdhsa_user_sgpr_count 2
		.amdhsa_user_sgpr_dispatch_ptr 0
		.amdhsa_user_sgpr_queue_ptr 0
		.amdhsa_user_sgpr_kernarg_segment_ptr 1
		.amdhsa_user_sgpr_dispatch_id 0
		.amdhsa_user_sgpr_kernarg_preload_length 0
		.amdhsa_user_sgpr_kernarg_preload_offset 0
		.amdhsa_user_sgpr_private_segment_size 0
		.amdhsa_wavefront_size32 1
		.amdhsa_uses_dynamic_stack 0
		.amdhsa_enable_private_segment 0
		.amdhsa_system_sgpr_workgroup_id_x 1
		.amdhsa_system_sgpr_workgroup_id_y 1
		.amdhsa_system_sgpr_workgroup_id_z 0
		.amdhsa_system_sgpr_workgroup_info 0
		.amdhsa_system_vgpr_workitem_id 0
		.amdhsa_next_free_vgpr 36
		.amdhsa_next_free_sgpr 32
		.amdhsa_named_barrier_count 0
		.amdhsa_reserve_vcc 1
		.amdhsa_float_round_mode_32 0
		.amdhsa_float_round_mode_16_64 0
		.amdhsa_float_denorm_mode_32 3
		.amdhsa_float_denorm_mode_16_64 3
		.amdhsa_fp16_overflow 0
		.amdhsa_memory_ordered 1
		.amdhsa_forward_progress 1
		.amdhsa_inst_pref_size 22
		.amdhsa_round_robin_scheduling 0
		.amdhsa_exception_fp_ieee_invalid_op 0
		.amdhsa_exception_fp_denorm_src 0
		.amdhsa_exception_fp_ieee_div_zero 0
		.amdhsa_exception_fp_ieee_overflow 0
		.amdhsa_exception_fp_ieee_underflow 0
		.amdhsa_exception_fp_ieee_inexact 0
		.amdhsa_exception_int_div_zero 0
	.end_amdhsa_kernel
	.section	.text._ZN9rocsolver6v33100L22larf_left_kernel_smallILi128E19rocblas_complex_numIfEiPKPS3_EEvT1_S7_T2_lS7_lPKT0_lS8_lS7_l,"axG",@progbits,_ZN9rocsolver6v33100L22larf_left_kernel_smallILi128E19rocblas_complex_numIfEiPKPS3_EEvT1_S7_T2_lS7_lPKT0_lS8_lS7_l,comdat
.Lfunc_end11:
	.size	_ZN9rocsolver6v33100L22larf_left_kernel_smallILi128E19rocblas_complex_numIfEiPKPS3_EEvT1_S7_T2_lS7_lPKT0_lS8_lS7_l, .Lfunc_end11-_ZN9rocsolver6v33100L22larf_left_kernel_smallILi128E19rocblas_complex_numIfEiPKPS3_EEvT1_S7_T2_lS7_lPKT0_lS8_lS7_l
                                        ; -- End function
	.set _ZN9rocsolver6v33100L22larf_left_kernel_smallILi128E19rocblas_complex_numIfEiPKPS3_EEvT1_S7_T2_lS7_lPKT0_lS8_lS7_l.num_vgpr, 36
	.set _ZN9rocsolver6v33100L22larf_left_kernel_smallILi128E19rocblas_complex_numIfEiPKPS3_EEvT1_S7_T2_lS7_lPKT0_lS8_lS7_l.num_agpr, 0
	.set _ZN9rocsolver6v33100L22larf_left_kernel_smallILi128E19rocblas_complex_numIfEiPKPS3_EEvT1_S7_T2_lS7_lPKT0_lS8_lS7_l.numbered_sgpr, 32
	.set _ZN9rocsolver6v33100L22larf_left_kernel_smallILi128E19rocblas_complex_numIfEiPKPS3_EEvT1_S7_T2_lS7_lPKT0_lS8_lS7_l.num_named_barrier, 0
	.set _ZN9rocsolver6v33100L22larf_left_kernel_smallILi128E19rocblas_complex_numIfEiPKPS3_EEvT1_S7_T2_lS7_lPKT0_lS8_lS7_l.private_seg_size, 0
	.set _ZN9rocsolver6v33100L22larf_left_kernel_smallILi128E19rocblas_complex_numIfEiPKPS3_EEvT1_S7_T2_lS7_lPKT0_lS8_lS7_l.uses_vcc, 1
	.set _ZN9rocsolver6v33100L22larf_left_kernel_smallILi128E19rocblas_complex_numIfEiPKPS3_EEvT1_S7_T2_lS7_lPKT0_lS8_lS7_l.uses_flat_scratch, 1
	.set _ZN9rocsolver6v33100L22larf_left_kernel_smallILi128E19rocblas_complex_numIfEiPKPS3_EEvT1_S7_T2_lS7_lPKT0_lS8_lS7_l.has_dyn_sized_stack, 0
	.set _ZN9rocsolver6v33100L22larf_left_kernel_smallILi128E19rocblas_complex_numIfEiPKPS3_EEvT1_S7_T2_lS7_lPKT0_lS8_lS7_l.has_recursion, 0
	.set _ZN9rocsolver6v33100L22larf_left_kernel_smallILi128E19rocblas_complex_numIfEiPKPS3_EEvT1_S7_T2_lS7_lPKT0_lS8_lS7_l.has_indirect_call, 0
	.section	.AMDGPU.csdata,"",@progbits
; Kernel info:
; codeLenInByte = 2748
; TotalNumSgprs: 34
; NumVgprs: 36
; ScratchSize: 0
; MemoryBound: 0
; FloatMode: 240
; IeeeMode: 1
; LDSByteSize: 17408 bytes/workgroup (compile time only)
; SGPRBlocks: 0
; VGPRBlocks: 2
; NumSGPRsForWavesPerEU: 34
; NumVGPRsForWavesPerEU: 36
; NamedBarCnt: 0
; Occupancy: 16
; WaveLimiterHint : 1
; COMPUTE_PGM_RSRC2:SCRATCH_EN: 0
; COMPUTE_PGM_RSRC2:USER_SGPR: 2
; COMPUTE_PGM_RSRC2:TRAP_HANDLER: 0
; COMPUTE_PGM_RSRC2:TGID_X_EN: 1
; COMPUTE_PGM_RSRC2:TGID_Y_EN: 1
; COMPUTE_PGM_RSRC2:TGID_Z_EN: 0
; COMPUTE_PGM_RSRC2:TIDIG_COMP_CNT: 0
	.section	.text._ZN9rocsolver6v33100L22larf_left_kernel_smallILi256E19rocblas_complex_numIfEiPKPS3_EEvT1_S7_T2_lS7_lPKT0_lS8_lS7_l,"axG",@progbits,_ZN9rocsolver6v33100L22larf_left_kernel_smallILi256E19rocblas_complex_numIfEiPKPS3_EEvT1_S7_T2_lS7_lPKT0_lS8_lS7_l,comdat
	.globl	_ZN9rocsolver6v33100L22larf_left_kernel_smallILi256E19rocblas_complex_numIfEiPKPS3_EEvT1_S7_T2_lS7_lPKT0_lS8_lS7_l ; -- Begin function _ZN9rocsolver6v33100L22larf_left_kernel_smallILi256E19rocblas_complex_numIfEiPKPS3_EEvT1_S7_T2_lS7_lPKT0_lS8_lS7_l
	.p2align	8
	.type	_ZN9rocsolver6v33100L22larf_left_kernel_smallILi256E19rocblas_complex_numIfEiPKPS3_EEvT1_S7_T2_lS7_lPKT0_lS8_lS7_l,@function
_ZN9rocsolver6v33100L22larf_left_kernel_smallILi256E19rocblas_complex_numIfEiPKPS3_EEvT1_S7_T2_lS7_lPKT0_lS8_lS7_l: ; @_ZN9rocsolver6v33100L22larf_left_kernel_smallILi256E19rocblas_complex_numIfEiPKPS3_EEvT1_S7_T2_lS7_lPKT0_lS8_lS7_l
; %bb.0:
	s_load_b256 s[4:11], s[0:1], 0x28
	s_bfe_u32 s2, ttmp6, 0x4000c
	s_and_b32 s12, ttmp6, 15
	s_add_co_i32 s2, s2, 1
	s_getreg_b32 s3, hwreg(HW_REG_IB_STS2, 6, 4)
	s_mul_i32 s2, ttmp9, s2
	v_lshlrev_b32_e32 v2, 3, v0
	s_add_co_i32 s12, s12, s2
	s_cmp_eq_u32 s3, 0
	s_mov_b32 s19, 0
	s_cselect_b32 s14, ttmp9, s12
	s_load_b64 s[12:13], s[0:1], 0x0
	s_ashr_i32 s15, s14, 31
	s_delay_alu instid0(SALU_CYCLE_1)
	s_lshl_b64 s[16:17], s[14:15], 3
	s_wait_kmcnt 0x0
	s_add_nc_u64 s[8:9], s[8:9], s[16:17]
	s_load_b64 s[8:9], s[8:9], 0x0
	v_cmp_gt_i32_e64 s2, s12, v0
	s_and_saveexec_b32 s18, s2
	s_cbranch_execz .LBB12_3
; %bb.1:
	s_clause 0x1
	s_load_b128 s[20:23], s[0:1], 0x8
	s_load_b32 s24, s[0:1], 0x18
	s_sub_co_i32 s25, 1, s12
	v_dual_mov_b32 v4, v0 :: v_dual_lshlrev_b32 v3, 3, v0
	s_wait_kmcnt 0x0
	s_add_nc_u64 s[16:17], s[20:21], s[16:17]
	s_lshl_b64 s[20:21], s[22:23], 3
	s_load_b64 s[16:17], s[16:17], 0x0
	s_mul_i32 s22, s24, s25
	s_cmp_lt_i32 s24, 1
	s_cselect_b32 s22, s22, 0
	s_delay_alu instid0(SALU_CYCLE_1)
	v_mad_u32 v1, v0, s24, s22
	s_wait_kmcnt 0x0
	s_add_nc_u64 s[16:17], s[16:17], s[20:21]
	s_lshl_b32 s20, s24, 8
.LBB12_2:                               ; =>This Inner Loop Header: Depth=1
	flat_load_b64 v[6:7], v1, s[16:17] scale_offset
	v_add_nc_u32_e32 v4, 0x100, v4
	s_wait_xcnt 0x0
	v_add_nc_u32_e32 v1, s20, v1
	s_delay_alu instid0(VALU_DEP_2)
	v_cmp_le_i32_e32 vcc_lo, s12, v4
	s_or_b32 s19, vcc_lo, s19
	s_wait_loadcnt_dscnt 0x0
	ds_store_b64 v3, v[6:7]
	v_add_nc_u32_e32 v3, 0x800, v3
	s_and_not1_b32 exec_lo, exec_lo, s19
	s_cbranch_execnz .LBB12_2
.LBB12_3:
	s_or_b32 exec_lo, exec_lo, s18
	s_bfe_u32 s16, ttmp6, 0x40010
	s_bfe_u32 s17, ttmp6, 0x40004
	s_add_co_i32 s16, s16, 1
	s_wait_dscnt 0x0
	s_mul_i32 s16, ttmp7, s16
	s_barrier_signal -1
	s_add_co_i32 s17, s17, s16
	s_cmp_eq_u32 s3, 0
	s_barrier_wait -1
	s_cselect_b32 s18, ttmp7, s17
	s_delay_alu instid0(SALU_CYCLE_1)
	s_cmp_ge_i32 s18, s13
	s_cbranch_scc1 .LBB12_37
; %bb.4:
	v_xad_u32 v4, v0, -1, s12
	s_load_b32 s19, s[0:1], 0x48
	v_dual_lshrrev_b32 v7, 2, v0 :: v_dual_bitop2_b32 v5, 31, v0 bitop3:0x40
	s_lshl_b64 s[10:11], s[10:11], 3
	s_delay_alu instid0(VALU_DEP_2)
	v_dual_mov_b32 v3, 0 :: v_dual_lshrrev_b32 v6, 8, v4
	v_mbcnt_lo_u32_b32 v14, -1, 0
	s_mul_u64 s[6:7], s[6:7], s[14:15]
	s_wait_kmcnt 0x0
	s_add_nc_u64 s[8:9], s[8:9], s[10:11]
	v_dual_add_nc_u32 v8, -1, v6 :: v_dual_add_nc_u32 v6, 1, v6
	s_lshl_b64 s[6:7], s[6:7], 3
	v_cmp_eq_u32_e64 s1, 0, v5
	v_cmp_lt_u32_e64 s3, 0xff, v4
	s_delay_alu instid0(VALU_DEP_3) | instskip(SKIP_3) | instid1(VALU_DEP_4)
	v_dual_mov_b32 v20, 0x4008 :: v_dual_lshrrev_b32 v9, 1, v8
	v_and_b32_e32 v10, 0x1fffffe, v6
	v_add_nc_u64_e32 v[4:5], s[8:9], v[2:3]
	v_cmp_eq_u32_e64 s0, 0, v0
	v_dual_mov_b32 v22, 0x4028 :: v_dual_add_nc_u32 v9, 1, v9
	s_delay_alu instid0(VALU_DEP_4) | instskip(SKIP_2) | instid1(VALU_DEP_3)
	v_lshl_or_b32 v18, v10, 8, v0
	v_or_b32_e32 v1, 0x100, v0
	s_add_nc_u64 s[10:11], s[4:5], s[6:7]
	v_and_b32_e32 v17, 3, v9
	v_lshl_or_b32 v15, v14, 2, 64
	v_or_b32_e32 v16, 0x4000, v7
	v_cmp_lt_u32_e64 s4, 5, v8
	v_cmp_ne_u32_e64 s5, v6, v10
	v_and_b32_e32 v19, -4, v9
	v_mov_b32_e32 v21, 0x4018
	v_lshlrev_b32_e32 v23, 3, v18
	v_cmp_ne_u32_e64 s6, 0, v17
	s_cmp_gt_i32 s12, 1
	s_mul_i32 s14, s18, s19
	s_cselect_b32 s7, -1, 0
	s_lshl_b32 s20, s19, 6
	s_branch .LBB12_6
.LBB12_5:                               ;   in Loop: Header=BB12_6 Depth=1
	s_or_b32 exec_lo, exec_lo, s15
	s_add_co_i32 s18, s18, 64
	s_add_co_i32 s14, s14, s20
	s_cmp_ge_i32 s18, s13
	s_cbranch_scc1 .LBB12_37
.LBB12_6:                               ; =>This Loop Header: Depth=1
                                        ;     Child Loop BB12_8 Depth 2
                                        ;     Child Loop BB12_26 Depth 2
	;; [unrolled: 1-line block ×4, first 2 shown]
	v_mov_b64_e32 v[6:7], 0
	s_ashr_i32 s15, s14, 31
	s_delay_alu instid0(SALU_CYCLE_1)
	s_lshl_b64 s[16:17], s[14:15], 3
	s_and_saveexec_b32 s15, s2
	s_cbranch_execz .LBB12_10
; %bb.7:                                ;   in Loop: Header=BB12_6 Depth=1
	v_dual_mov_b32 v6, 0 :: v_dual_mov_b32 v10, v2
	v_add_nc_u64_e32 v[8:9], s[16:17], v[4:5]
	v_mov_b32_e32 v11, v0
	s_mov_b32 s21, 0
	s_delay_alu instid0(VALU_DEP_3)
	v_mov_b32_e32 v7, v6
.LBB12_8:                               ;   Parent Loop BB12_6 Depth=1
                                        ; =>  This Inner Loop Header: Depth=2
	flat_load_b64 v[12:13], v[8:9]
	ds_load_b64 v[24:25], v10
	s_wait_xcnt 0x0
	v_add_nc_u64_e32 v[8:9], 0x800, v[8:9]
	v_add_nc_u32_e32 v11, 0x100, v11
	v_add_nc_u32_e32 v10, 0x800, v10
	s_delay_alu instid0(VALU_DEP_2)
	v_cmp_le_i32_e32 vcc_lo, s12, v11
	s_or_b32 s21, vcc_lo, s21
	s_wait_dscnt 0x0
	v_mov_b32_e32 v28, v25
	s_wait_loadcnt 0x0
	v_pk_mul_f32 v[26:27], v[12:13], v[24:25] op_sel_hi:[1,0]
	s_delay_alu instid0(VALU_DEP_1) | instskip(NEXT) | instid1(VALU_DEP_3)
	v_pk_fma_f32 v[24:25], v[12:13], v[24:25], v[26:27] op_sel:[1,1,0] op_sel_hi:[0,1,1] neg_lo:[0,0,1] neg_hi:[0,0,1]
	v_pk_fma_f32 v[12:13], v[12:13], v[28:29], v[26:27] op_sel:[1,0,0] op_sel_hi:[0,1,1]
	s_delay_alu instid0(VALU_DEP_2) | instskip(NEXT) | instid1(VALU_DEP_1)
	v_mov_b32_e32 v13, v25
	v_pk_add_f32 v[6:7], v[6:7], v[12:13]
	s_and_not1_b32 exec_lo, exec_lo, s21
	s_cbranch_execnz .LBB12_8
; %bb.9:                                ;   in Loop: Header=BB12_6 Depth=1
	s_or_b32 exec_lo, exec_lo, s21
.LBB12_10:                              ;   in Loop: Header=BB12_6 Depth=1
	s_delay_alu instid0(SALU_CYCLE_1) | instskip(NEXT) | instid1(SALU_CYCLE_1)
	s_or_b32 exec_lo, exec_lo, s15
	s_and_b32 vcc_lo, exec_lo, s7
	s_cbranch_vccz .LBB12_17
; %bb.11:                               ;   in Loop: Header=BB12_6 Depth=1
	v_cmp_ne_u32_e32 vcc_lo, 31, v14
	v_add_co_ci_u32_e64 v8, null, 0, v14, vcc_lo
	v_cmp_gt_u32_e32 vcc_lo, 30, v14
	s_delay_alu instid0(VALU_DEP_2)
	v_lshlrev_b32_e32 v9, 2, v8
	v_cndmask_b32_e64 v10, 0, 2, vcc_lo
	v_cmp_gt_u32_e32 vcc_lo, 28, v14
	ds_bpermute_b32 v8, v9, v6
	ds_bpermute_b32 v9, v9, v7
	v_add_lshl_u32 v11, v10, v14, 2
	v_cndmask_b32_e64 v12, 0, 4, vcc_lo
	v_cmp_gt_u32_e32 vcc_lo, 24, v14
	s_delay_alu instid0(VALU_DEP_2)
	v_add_lshl_u32 v12, v12, v14, 2
	s_wait_dscnt 0x0
	v_pk_add_f32 v[8:9], v[6:7], v[8:9]
	ds_bpermute_b32 v10, v11, v8
	ds_bpermute_b32 v11, v11, v9
	s_wait_dscnt 0x0
	v_pk_add_f32 v[8:9], v[8:9], v[10:11]
	ds_bpermute_b32 v10, v12, v8
	ds_bpermute_b32 v11, v12, v9
	v_cndmask_b32_e64 v12, 0, 8, vcc_lo
	s_delay_alu instid0(VALU_DEP_1)
	v_add_lshl_u32 v12, v12, v14, 2
	s_wait_dscnt 0x0
	v_pk_add_f32 v[8:9], v[8:9], v[10:11]
	ds_bpermute_b32 v10, v12, v8
	ds_bpermute_b32 v11, v12, v9
	s_wait_dscnt 0x0
	v_pk_add_f32 v[8:9], v[8:9], v[10:11]
	ds_bpermute_b32 v10, v15, v8
	ds_bpermute_b32 v11, v15, v9
	s_wait_dscnt 0x0
	v_pk_add_f32 v[8:9], v[8:9], v[10:11]
	s_and_saveexec_b32 s15, s1
; %bb.12:                               ;   in Loop: Header=BB12_6 Depth=1
	ds_store_2addr_b32 v16, v8, v9 offset1:1
; %bb.13:                               ;   in Loop: Header=BB12_6 Depth=1
	s_or_b32 exec_lo, exec_lo, s15
	s_mov_b32 s21, 0
	s_mov_b32 s15, 0
	s_wait_dscnt 0x0
	s_barrier_signal -1
	s_barrier_wait -1
                                        ; implicit-def: $vgpr10_vgpr11
	s_and_saveexec_b32 s22, s0
	s_delay_alu instid0(SALU_CYCLE_1)
	s_xor_b32 s22, exec_lo, s22
	s_cbranch_execz .LBB12_15
; %bb.14:                               ;   in Loop: Header=BB12_6 Depth=1
	ds_load_2addr_b64 v[10:13], v20 offset1:1
	ds_load_2addr_b64 v[24:27], v21 offset1:1
	s_mov_b32 s15, exec_lo
	s_wait_dscnt 0x1
	v_pk_add_f32 v[28:29], v[8:9], v[10:11]
	ds_load_2addr_b64 v[8:11], v22 offset1:1
	v_pk_add_f32 v[12:13], v[28:29], v[12:13]
	s_wait_dscnt 0x1
	s_delay_alu instid0(VALU_DEP_1) | instskip(SKIP_3) | instid1(VALU_DEP_1)
	v_pk_add_f32 v[12:13], v[12:13], v[24:25]
	ds_load_b64 v[24:25], v3 offset:16440
	v_pk_add_f32 v[12:13], v[12:13], v[26:27]
	s_wait_dscnt 0x1
	v_pk_add_f32 v[8:9], v[12:13], v[8:9]
	s_delay_alu instid0(VALU_DEP_1) | instskip(SKIP_1) | instid1(VALU_DEP_1)
	v_pk_add_f32 v[8:9], v[8:9], v[10:11]
	s_wait_dscnt 0x0
	v_pk_add_f32 v[10:11], v[8:9], v[24:25]
.LBB12_15:                              ;   in Loop: Header=BB12_6 Depth=1
	s_or_b32 exec_lo, exec_lo, s22
	s_delay_alu instid0(SALU_CYCLE_1)
	s_and_b32 vcc_lo, exec_lo, s21
	s_cbranch_vccnz .LBB12_18
.LBB12_16:                              ;   in Loop: Header=BB12_6 Depth=1
	s_delay_alu instid0(VALU_DEP_1)
	v_mov_b64_e32 v[6:7], v[10:11]
	s_and_saveexec_b32 s21, s15
	s_cbranch_execnz .LBB12_19
	s_branch .LBB12_20
.LBB12_17:                              ;   in Loop: Header=BB12_6 Depth=1
	s_mov_b32 s15, 0
                                        ; implicit-def: $vgpr10_vgpr11
	s_cbranch_execz .LBB12_16
.LBB12_18:                              ;   in Loop: Header=BB12_6 Depth=1
	s_and_not1_b32 s15, s15, exec_lo
	s_and_b32 s21, s0, exec_lo
	s_delay_alu instid0(SALU_CYCLE_1) | instskip(NEXT) | instid1(SALU_CYCLE_1)
	s_or_b32 s15, s15, s21
	s_and_saveexec_b32 s21, s15
.LBB12_19:                              ;   in Loop: Header=BB12_6 Depth=1
	ds_store_b64 v3, v[6:7] offset:16384
.LBB12_20:                              ;   in Loop: Header=BB12_6 Depth=1
	s_or_b32 exec_lo, exec_lo, s21
	s_wait_dscnt 0x0
	s_barrier_signal -1
	s_barrier_wait -1
	s_and_saveexec_b32 s15, s2
	s_cbranch_execz .LBB12_5
; %bb.21:                               ;   in Loop: Header=BB12_6 Depth=1
	global_load_b64 v[10:11], v3, s[10:11]
	ds_load_b64 v[12:13], v3 offset:16384
	s_mov_b32 s22, 0
                                        ; implicit-def: $vgpr24
	s_wait_loadcnt_dscnt 0x0
	v_dual_mul_f32 v6, v11, v13 :: v_dual_mul_f32 v7, v11, v12
	v_xor_b32_e32 v9, 0x80000000, v10
	s_delay_alu instid0(VALU_DEP_2) | instskip(NEXT) | instid1(VALU_DEP_3)
	v_xor_b32_e32 v6, 0x80000000, v6
	v_xor_b32_e32 v8, 0x80000000, v7
	s_delay_alu instid0(VALU_DEP_2) | instskip(NEXT) | instid1(VALU_DEP_2)
	v_fmac_f32_e32 v6, v12, v9
	v_fmac_f32_e32 v8, v10, v13
	s_wait_xcnt 0x0
	s_and_saveexec_b32 s21, s3
	s_delay_alu instid0(SALU_CYCLE_1)
	s_xor_b32 s21, exec_lo, s21
	s_cbranch_execnz .LBB12_24
; %bb.22:                               ;   in Loop: Header=BB12_6 Depth=1
	s_or_saveexec_b32 s21, s21
	v_mov_b32_e32 v10, v18
	s_xor_b32 exec_lo, exec_lo, s21
	s_cbranch_execnz .LBB12_34
.LBB12_23:                              ;   in Loop: Header=BB12_6 Depth=1
	s_or_b32 exec_lo, exec_lo, s21
	s_delay_alu instid0(SALU_CYCLE_1)
	s_and_b32 exec_lo, exec_lo, s22
	s_cbranch_execz .LBB12_5
	s_branch .LBB12_35
.LBB12_24:                              ;   in Loop: Header=BB12_6 Depth=1
	v_mov_b64_e32 v[10:11], v[0:1]
	v_dual_mov_b32 v7, v6 :: v_dual_mov_b32 v9, v8
	v_mov_b32_e32 v24, 0
	s_mul_i32 s22, s18, s19
	s_and_saveexec_b32 s23, s4
	s_cbranch_execz .LBB12_28
; %bb.25:                               ;   in Loop: Header=BB12_6 Depth=1
	v_mov_b64_e32 v[10:11], v[0:1]
	v_dual_mov_b32 v12, v19 :: v_dual_mov_b32 v13, v2
	s_add_co_i32 s24, s22, 0x200
	s_add_co_i32 s25, s22, 0x400
	;; [unrolled: 1-line block ×3, first 2 shown]
	s_mov_b32 s26, s24
	s_mov_b32 s27, s25
	;; [unrolled: 1-line block ×5, first 2 shown]
.LBB12_26:                              ;   Parent Loop BB12_6 Depth=1
                                        ; =>  This Inner Loop Header: Depth=2
	v_dual_add_nc_u32 v34, s22, v10 :: v_dual_add_nc_u32 v35, s22, v11
	v_dual_add_nc_u32 v36, s26, v11 :: v_dual_add_nc_u32 v37, s24, v10
	s_add_co_i32 s31, s31, 8
	s_clause 0x1
	flat_load_b64 v[28:29], v34, s[8:9] scale_offset
	flat_load_b64 v[30:31], v35, s[8:9] scale_offset
	ds_load_2addr_stride64_b64 v[24:27], v13 offset1:4
	s_wait_dscnt 0x0
	v_dual_mov_b32 v33, v26 :: v_dual_add_nc_u32 v12, -4, v12
	v_dual_mov_b32 v26, v25 :: v_dual_mov_b32 v32, v24
	s_delay_alu instid0(VALU_DEP_1) | instskip(SKIP_1) | instid1(VALU_DEP_2)
	v_pk_mul_f32 v[24:25], v[8:9], v[26:27]
	v_pk_mul_f32 v[26:27], v[6:7], v[26:27]
	v_pk_fma_f32 v[24:25], v[6:7], v[32:33], v[24:25] neg_lo:[0,0,1] neg_hi:[0,0,1]
	s_delay_alu instid0(VALU_DEP_2) | instskip(SKIP_3) | instid1(VALU_DEP_2)
	v_pk_fma_f32 v[26:27], v[8:9], v[32:33], v[26:27]
	s_wait_loadcnt 0x0
	v_dual_mov_b32 v32, v28 :: v_dual_mov_b32 v33, v30
	v_mov_b32_e32 v30, v29
	v_pk_add_f32 v[24:25], v[32:33], v[24:25]
	s_delay_alu instid0(VALU_DEP_2) | instskip(NEXT) | instid1(VALU_DEP_1)
	v_pk_add_f32 v[26:27], v[26:27], v[30:31]
	v_dual_mov_b32 v28, v24 :: v_dual_mov_b32 v29, v26
	s_delay_alu instid0(VALU_DEP_3)
	v_mov_b32_e32 v26, v25
	s_clause 0x3
	flat_store_b64 v34, v[28:29], s[8:9] scale_offset
	flat_store_b64 v35, v[26:27], s[8:9] scale_offset
	flat_load_b64 v[28:29], v37, s[8:9] scale_offset
	flat_load_b64 v[30:31], v36, s[8:9] scale_offset
	s_wait_xcnt 0x2
	ds_load_2addr_stride64_b64 v[24:27], v13 offset0:8 offset1:12
	v_dual_add_nc_u32 v35, s25, v10 :: v_dual_add_nc_u32 v34, s27, v11
	s_wait_dscnt 0x0
	v_dual_mov_b32 v33, v26 :: v_dual_mov_b32 v26, v25
	v_mov_b32_e32 v32, v24
	s_delay_alu instid0(VALU_DEP_2) | instskip(SKIP_1) | instid1(VALU_DEP_2)
	v_pk_mul_f32 v[24:25], v[8:9], v[26:27]
	v_pk_mul_f32 v[26:27], v[6:7], v[26:27]
	v_pk_fma_f32 v[24:25], v[6:7], v[32:33], v[24:25] neg_lo:[0,0,1] neg_hi:[0,0,1]
	s_delay_alu instid0(VALU_DEP_2) | instskip(SKIP_2) | instid1(VALU_DEP_1)
	v_pk_fma_f32 v[26:27], v[8:9], v[32:33], v[26:27]
	s_wait_loadcnt 0x0
	v_dual_mov_b32 v32, v28 :: v_dual_mov_b32 v33, v30
	v_pk_add_f32 v[24:25], v[32:33], v[24:25]
	s_delay_alu instid0(VALU_DEP_1) | instskip(NEXT) | instid1(VALU_DEP_1)
	v_dual_mov_b32 v30, v29 :: v_dual_mov_b32 v28, v24
	v_pk_add_f32 v[26:27], v[26:27], v[30:31]
	s_delay_alu instid0(VALU_DEP_1)
	v_dual_mov_b32 v29, v26 :: v_dual_mov_b32 v26, v25
	s_clause 0x3
	flat_store_b64 v37, v[28:29], s[8:9] scale_offset
	flat_store_b64 v36, v[26:27], s[8:9] scale_offset
	flat_load_b64 v[28:29], v35, s[8:9] scale_offset
	flat_load_b64 v[30:31], v34, s[8:9] scale_offset
	s_wait_xcnt 0x2
	ds_load_2addr_stride64_b64 v[24:27], v13 offset0:16 offset1:20
	v_dual_add_nc_u32 v36, s30, v11 :: v_dual_add_nc_u32 v37, s28, v10
	v_add_nc_u32_e32 v11, 0x800, v11
	s_wait_dscnt 0x0
	v_dual_mov_b32 v33, v26 :: v_dual_mov_b32 v26, v25
	v_mov_b32_e32 v32, v24
	s_delay_alu instid0(VALU_DEP_2) | instskip(SKIP_1) | instid1(VALU_DEP_2)
	v_pk_mul_f32 v[24:25], v[8:9], v[26:27]
	v_pk_mul_f32 v[26:27], v[6:7], v[26:27]
	v_pk_fma_f32 v[24:25], v[6:7], v[32:33], v[24:25] neg_lo:[0,0,1] neg_hi:[0,0,1]
	s_delay_alu instid0(VALU_DEP_2) | instskip(SKIP_3) | instid1(VALU_DEP_2)
	v_pk_fma_f32 v[26:27], v[8:9], v[32:33], v[26:27]
	s_wait_loadcnt 0x0
	v_dual_mov_b32 v32, v28 :: v_dual_mov_b32 v33, v30
	v_mov_b32_e32 v30, v29
	v_pk_add_f32 v[24:25], v[32:33], v[24:25]
	s_delay_alu instid0(VALU_DEP_2) | instskip(NEXT) | instid1(VALU_DEP_1)
	v_pk_add_f32 v[26:27], v[26:27], v[30:31]
	v_dual_mov_b32 v28, v24 :: v_dual_mov_b32 v29, v26
	s_delay_alu instid0(VALU_DEP_3)
	v_mov_b32_e32 v26, v25
	s_clause 0x3
	flat_store_b64 v35, v[28:29], s[8:9] scale_offset
	flat_store_b64 v34, v[26:27], s[8:9] scale_offset
	flat_load_b64 v[28:29], v37, s[8:9] scale_offset
	flat_load_b64 v[30:31], v36, s[8:9] scale_offset
	s_wait_xcnt 0x2
	ds_load_2addr_stride64_b64 v[24:27], v13 offset0:24 offset1:28
	v_add_nc_u32_e32 v13, 0x4000, v13
	s_wait_dscnt 0x0
	v_dual_mov_b32 v33, v26 :: v_dual_mov_b32 v26, v25
	v_mov_b32_e32 v32, v24
	s_delay_alu instid0(VALU_DEP_2) | instskip(SKIP_1) | instid1(VALU_DEP_2)
	v_pk_mul_f32 v[24:25], v[8:9], v[26:27]
	v_pk_mul_f32 v[26:27], v[6:7], v[26:27]
	v_pk_fma_f32 v[24:25], v[6:7], v[32:33], v[24:25] neg_lo:[0,0,1] neg_hi:[0,0,1]
	s_delay_alu instid0(VALU_DEP_2) | instskip(SKIP_3) | instid1(VALU_DEP_2)
	v_pk_fma_f32 v[26:27], v[8:9], v[32:33], v[26:27]
	s_wait_loadcnt 0x0
	v_dual_mov_b32 v32, v28 :: v_dual_mov_b32 v33, v30
	v_mov_b32_e32 v30, v29
	v_pk_add_f32 v[28:29], v[32:33], v[24:25]
	s_delay_alu instid0(VALU_DEP_2) | instskip(SKIP_3) | instid1(VALU_DEP_4)
	v_pk_add_f32 v[26:27], v[26:27], v[30:31]
	v_mov_b32_e32 v24, s31
	v_cmp_eq_u32_e32 vcc_lo, 0, v12
	v_add_nc_u32_e32 v10, 0x800, v10
	v_dual_mov_b32 v30, v28 :: v_dual_mov_b32 v31, v26
	v_mov_b32_e32 v26, v29
	s_or_b32 s29, vcc_lo, s29
	s_clause 0x1
	flat_store_b64 v37, v[30:31], s[8:9] scale_offset
	flat_store_b64 v36, v[26:27], s[8:9] scale_offset
	s_wait_xcnt 0x0
	s_and_not1_b32 exec_lo, exec_lo, s29
	s_cbranch_execnz .LBB12_26
; %bb.27:                               ;   in Loop: Header=BB12_6 Depth=1
	s_or_b32 exec_lo, exec_lo, s29
.LBB12_28:                              ;   in Loop: Header=BB12_6 Depth=1
	s_delay_alu instid0(SALU_CYCLE_1)
	s_or_b32 exec_lo, exec_lo, s23
	s_and_saveexec_b32 s23, s6
	s_cbranch_execz .LBB12_31
; %bb.29:                               ;   in Loop: Header=BB12_6 Depth=1
	v_lshl_or_b32 v12, v24, 11, v2
	v_mov_b32_e32 v13, v17
	s_mov_b32 s24, 0
.LBB12_30:                              ;   Parent Loop BB12_6 Depth=1
                                        ; =>  This Inner Loop Header: Depth=2
	v_dual_add_nc_u32 v34, s22, v10 :: v_dual_add_nc_u32 v35, s22, v11
	v_add_nc_u32_e32 v10, 0x200, v10
	s_clause 0x1
	flat_load_b64 v[28:29], v34, s[8:9] scale_offset
	flat_load_b64 v[30:31], v35, s[8:9] scale_offset
	ds_load_2addr_stride64_b64 v[24:27], v12 offset1:4
	s_wait_dscnt 0x0
	v_dual_mov_b32 v33, v26 :: v_dual_add_nc_u32 v12, 0x1000, v12
	v_dual_mov_b32 v26, v25 :: v_dual_mov_b32 v32, v24
	s_delay_alu instid0(VALU_DEP_1) | instskip(SKIP_1) | instid1(VALU_DEP_2)
	v_pk_mul_f32 v[24:25], v[8:9], v[26:27]
	v_pk_mul_f32 v[26:27], v[6:7], v[26:27]
	v_pk_fma_f32 v[24:25], v[6:7], v[32:33], v[24:25] neg_lo:[0,0,1] neg_hi:[0,0,1]
	s_delay_alu instid0(VALU_DEP_2) | instskip(SKIP_3) | instid1(VALU_DEP_2)
	v_pk_fma_f32 v[26:27], v[8:9], v[32:33], v[26:27]
	s_wait_loadcnt 0x0
	v_dual_mov_b32 v32, v28 :: v_dual_mov_b32 v33, v30
	v_mov_b32_e32 v30, v29
	v_pk_add_f32 v[24:25], v[32:33], v[24:25]
	s_delay_alu instid0(VALU_DEP_2) | instskip(SKIP_1) | instid1(VALU_DEP_3)
	v_pk_add_f32 v[26:27], v[26:27], v[30:31]
	v_add_nc_u32_e32 v13, -1, v13
	v_dual_mov_b32 v28, v24 :: v_dual_add_nc_u32 v11, 0x200, v11
	s_delay_alu instid0(VALU_DEP_3) | instskip(NEXT) | instid1(VALU_DEP_3)
	v_mov_b32_e32 v29, v26
	v_cmp_eq_u32_e32 vcc_lo, 0, v13
	v_mov_b32_e32 v26, v25
	s_clause 0x1
	flat_store_b64 v34, v[28:29], s[8:9] scale_offset
	flat_store_b64 v35, v[26:27], s[8:9] scale_offset
	s_or_b32 s24, vcc_lo, s24
	s_wait_xcnt 0x0
	s_and_not1_b32 exec_lo, exec_lo, s24
	s_cbranch_execnz .LBB12_30
.LBB12_31:                              ;   in Loop: Header=BB12_6 Depth=1
	s_or_b32 exec_lo, exec_lo, s23
	s_mov_b32 s22, 0
	s_and_saveexec_b32 s23, s5
	s_delay_alu instid0(SALU_CYCLE_1)
	s_xor_b32 s23, exec_lo, s23
; %bb.32:                               ;   in Loop: Header=BB12_6 Depth=1
	s_mov_b32 s22, exec_lo
; %bb.33:                               ;   in Loop: Header=BB12_6 Depth=1
	s_or_b32 exec_lo, exec_lo, s23
	v_mov_b32_e32 v24, v23
	s_and_b32 s22, s22, exec_lo
	s_or_saveexec_b32 s21, s21
	v_mov_b32_e32 v10, v18
	s_xor_b32 exec_lo, exec_lo, s21
	s_cbranch_execz .LBB12_23
.LBB12_34:                              ;   in Loop: Header=BB12_6 Depth=1
	v_dual_mov_b32 v10, v0 :: v_dual_mov_b32 v24, v2
	s_or_b32 s22, s22, exec_lo
	s_or_b32 exec_lo, exec_lo, s21
	s_delay_alu instid0(SALU_CYCLE_1)
	s_and_b32 exec_lo, exec_lo, s22
	s_cbranch_execz .LBB12_5
.LBB12_35:                              ;   in Loop: Header=BB12_6 Depth=1
	v_dual_ashrrev_i32 v11, 31, v10 :: v_dual_mov_b32 v9, v8
	s_add_nc_u64 s[16:17], s[8:9], s[16:17]
	v_mov_b32_e32 v7, v6
	s_delay_alu instid0(VALU_DEP_2)
	v_lshl_add_u64 v[12:13], v[10:11], 3, s[16:17]
	s_mov_b32 s16, 0
.LBB12_36:                              ;   Parent Loop BB12_6 Depth=1
                                        ; =>  This Inner Loop Header: Depth=2
	flat_load_b64 v[26:27], v[12:13]
	ds_load_b64 v[28:29], v24
	v_add_nc_u32_e32 v24, 0x800, v24
	v_add_nc_u32_e32 v10, 0x100, v10
	s_delay_alu instid0(VALU_DEP_1) | instskip(SKIP_3) | instid1(VALU_DEP_1)
	v_cmp_le_i32_e32 vcc_lo, s12, v10
	s_or_b32 s16, vcc_lo, s16
	s_wait_dscnt 0x0
	v_pk_mul_f32 v[30:31], v[8:9], v[28:29] op_sel:[0,1] op_sel_hi:[1,0]
	v_pk_fma_f32 v[32:33], v[6:7], v[28:29], v[30:31]
	v_pk_fma_f32 v[28:29], v[6:7], v[28:29], v[30:31] neg_lo:[0,0,1] neg_hi:[0,0,1]
	s_delay_alu instid0(VALU_DEP_2) | instskip(SKIP_1) | instid1(VALU_DEP_1)
	v_mov_b32_e32 v29, v33
	s_wait_loadcnt 0x0
	v_pk_add_f32 v[26:27], v[26:27], v[28:29]
	flat_store_b64 v[12:13], v[26:27]
	s_wait_xcnt 0x0
	v_add_nc_u64_e32 v[12:13], 0x800, v[12:13]
	s_and_not1_b32 exec_lo, exec_lo, s16
	s_cbranch_execnz .LBB12_36
	s_branch .LBB12_5
.LBB12_37:
	s_endpgm
	.section	.rodata,"a",@progbits
	.p2align	6, 0x0
	.amdhsa_kernel _ZN9rocsolver6v33100L22larf_left_kernel_smallILi256E19rocblas_complex_numIfEiPKPS3_EEvT1_S7_T2_lS7_lPKT0_lS8_lS7_l
		.amdhsa_group_segment_fixed_size 18432
		.amdhsa_private_segment_fixed_size 0
		.amdhsa_kernarg_size 88
		.amdhsa_user_sgpr_count 2
		.amdhsa_user_sgpr_dispatch_ptr 0
		.amdhsa_user_sgpr_queue_ptr 0
		.amdhsa_user_sgpr_kernarg_segment_ptr 1
		.amdhsa_user_sgpr_dispatch_id 0
		.amdhsa_user_sgpr_kernarg_preload_length 0
		.amdhsa_user_sgpr_kernarg_preload_offset 0
		.amdhsa_user_sgpr_private_segment_size 0
		.amdhsa_wavefront_size32 1
		.amdhsa_uses_dynamic_stack 0
		.amdhsa_enable_private_segment 0
		.amdhsa_system_sgpr_workgroup_id_x 1
		.amdhsa_system_sgpr_workgroup_id_y 1
		.amdhsa_system_sgpr_workgroup_id_z 0
		.amdhsa_system_sgpr_workgroup_info 0
		.amdhsa_system_vgpr_workitem_id 0
		.amdhsa_next_free_vgpr 38
		.amdhsa_next_free_sgpr 32
		.amdhsa_named_barrier_count 0
		.amdhsa_reserve_vcc 1
		.amdhsa_float_round_mode_32 0
		.amdhsa_float_round_mode_16_64 0
		.amdhsa_float_denorm_mode_32 3
		.amdhsa_float_denorm_mode_16_64 3
		.amdhsa_fp16_overflow 0
		.amdhsa_memory_ordered 1
		.amdhsa_forward_progress 1
		.amdhsa_inst_pref_size 23
		.amdhsa_round_robin_scheduling 0
		.amdhsa_exception_fp_ieee_invalid_op 0
		.amdhsa_exception_fp_denorm_src 0
		.amdhsa_exception_fp_ieee_div_zero 0
		.amdhsa_exception_fp_ieee_overflow 0
		.amdhsa_exception_fp_ieee_underflow 0
		.amdhsa_exception_fp_ieee_inexact 0
		.amdhsa_exception_int_div_zero 0
	.end_amdhsa_kernel
	.section	.text._ZN9rocsolver6v33100L22larf_left_kernel_smallILi256E19rocblas_complex_numIfEiPKPS3_EEvT1_S7_T2_lS7_lPKT0_lS8_lS7_l,"axG",@progbits,_ZN9rocsolver6v33100L22larf_left_kernel_smallILi256E19rocblas_complex_numIfEiPKPS3_EEvT1_S7_T2_lS7_lPKT0_lS8_lS7_l,comdat
.Lfunc_end12:
	.size	_ZN9rocsolver6v33100L22larf_left_kernel_smallILi256E19rocblas_complex_numIfEiPKPS3_EEvT1_S7_T2_lS7_lPKT0_lS8_lS7_l, .Lfunc_end12-_ZN9rocsolver6v33100L22larf_left_kernel_smallILi256E19rocblas_complex_numIfEiPKPS3_EEvT1_S7_T2_lS7_lPKT0_lS8_lS7_l
                                        ; -- End function
	.set _ZN9rocsolver6v33100L22larf_left_kernel_smallILi256E19rocblas_complex_numIfEiPKPS3_EEvT1_S7_T2_lS7_lPKT0_lS8_lS7_l.num_vgpr, 38
	.set _ZN9rocsolver6v33100L22larf_left_kernel_smallILi256E19rocblas_complex_numIfEiPKPS3_EEvT1_S7_T2_lS7_lPKT0_lS8_lS7_l.num_agpr, 0
	.set _ZN9rocsolver6v33100L22larf_left_kernel_smallILi256E19rocblas_complex_numIfEiPKPS3_EEvT1_S7_T2_lS7_lPKT0_lS8_lS7_l.numbered_sgpr, 32
	.set _ZN9rocsolver6v33100L22larf_left_kernel_smallILi256E19rocblas_complex_numIfEiPKPS3_EEvT1_S7_T2_lS7_lPKT0_lS8_lS7_l.num_named_barrier, 0
	.set _ZN9rocsolver6v33100L22larf_left_kernel_smallILi256E19rocblas_complex_numIfEiPKPS3_EEvT1_S7_T2_lS7_lPKT0_lS8_lS7_l.private_seg_size, 0
	.set _ZN9rocsolver6v33100L22larf_left_kernel_smallILi256E19rocblas_complex_numIfEiPKPS3_EEvT1_S7_T2_lS7_lPKT0_lS8_lS7_l.uses_vcc, 1
	.set _ZN9rocsolver6v33100L22larf_left_kernel_smallILi256E19rocblas_complex_numIfEiPKPS3_EEvT1_S7_T2_lS7_lPKT0_lS8_lS7_l.uses_flat_scratch, 1
	.set _ZN9rocsolver6v33100L22larf_left_kernel_smallILi256E19rocblas_complex_numIfEiPKPS3_EEvT1_S7_T2_lS7_lPKT0_lS8_lS7_l.has_dyn_sized_stack, 0
	.set _ZN9rocsolver6v33100L22larf_left_kernel_smallILi256E19rocblas_complex_numIfEiPKPS3_EEvT1_S7_T2_lS7_lPKT0_lS8_lS7_l.has_recursion, 0
	.set _ZN9rocsolver6v33100L22larf_left_kernel_smallILi256E19rocblas_complex_numIfEiPKPS3_EEvT1_S7_T2_lS7_lPKT0_lS8_lS7_l.has_indirect_call, 0
	.section	.AMDGPU.csdata,"",@progbits
; Kernel info:
; codeLenInByte = 2832
; TotalNumSgprs: 34
; NumVgprs: 38
; ScratchSize: 0
; MemoryBound: 0
; FloatMode: 240
; IeeeMode: 1
; LDSByteSize: 18432 bytes/workgroup (compile time only)
; SGPRBlocks: 0
; VGPRBlocks: 2
; NumSGPRsForWavesPerEU: 34
; NumVGPRsForWavesPerEU: 38
; NamedBarCnt: 0
; Occupancy: 16
; WaveLimiterHint : 1
; COMPUTE_PGM_RSRC2:SCRATCH_EN: 0
; COMPUTE_PGM_RSRC2:USER_SGPR: 2
; COMPUTE_PGM_RSRC2:TRAP_HANDLER: 0
; COMPUTE_PGM_RSRC2:TGID_X_EN: 1
; COMPUTE_PGM_RSRC2:TGID_Y_EN: 1
; COMPUTE_PGM_RSRC2:TGID_Z_EN: 0
; COMPUTE_PGM_RSRC2:TIDIG_COMP_CNT: 0
	.section	.text._ZN9rocsolver6v33100L22larf_left_kernel_smallILi512E19rocblas_complex_numIfEiPKPS3_EEvT1_S7_T2_lS7_lPKT0_lS8_lS7_l,"axG",@progbits,_ZN9rocsolver6v33100L22larf_left_kernel_smallILi512E19rocblas_complex_numIfEiPKPS3_EEvT1_S7_T2_lS7_lPKT0_lS8_lS7_l,comdat
	.globl	_ZN9rocsolver6v33100L22larf_left_kernel_smallILi512E19rocblas_complex_numIfEiPKPS3_EEvT1_S7_T2_lS7_lPKT0_lS8_lS7_l ; -- Begin function _ZN9rocsolver6v33100L22larf_left_kernel_smallILi512E19rocblas_complex_numIfEiPKPS3_EEvT1_S7_T2_lS7_lPKT0_lS8_lS7_l
	.p2align	8
	.type	_ZN9rocsolver6v33100L22larf_left_kernel_smallILi512E19rocblas_complex_numIfEiPKPS3_EEvT1_S7_T2_lS7_lPKT0_lS8_lS7_l,@function
_ZN9rocsolver6v33100L22larf_left_kernel_smallILi512E19rocblas_complex_numIfEiPKPS3_EEvT1_S7_T2_lS7_lPKT0_lS8_lS7_l: ; @_ZN9rocsolver6v33100L22larf_left_kernel_smallILi512E19rocblas_complex_numIfEiPKPS3_EEvT1_S7_T2_lS7_lPKT0_lS8_lS7_l
; %bb.0:
	s_load_b256 s[4:11], s[0:1], 0x28
	s_bfe_u32 s2, ttmp6, 0x4000c
	s_and_b32 s12, ttmp6, 15
	s_add_co_i32 s2, s2, 1
	s_getreg_b32 s3, hwreg(HW_REG_IB_STS2, 6, 4)
	s_mul_i32 s2, ttmp9, s2
	v_lshlrev_b32_e32 v2, 3, v0
	s_add_co_i32 s12, s12, s2
	s_cmp_eq_u32 s3, 0
	s_mov_b32 s19, 0
	s_cselect_b32 s14, ttmp9, s12
	s_load_b64 s[12:13], s[0:1], 0x0
	s_ashr_i32 s15, s14, 31
	s_delay_alu instid0(SALU_CYCLE_1)
	s_lshl_b64 s[16:17], s[14:15], 3
	s_wait_kmcnt 0x0
	s_add_nc_u64 s[8:9], s[8:9], s[16:17]
	s_load_b64 s[8:9], s[8:9], 0x0
	v_cmp_gt_i32_e64 s2, s12, v0
	s_and_saveexec_b32 s18, s2
	s_cbranch_execz .LBB13_3
; %bb.1:
	s_clause 0x1
	s_load_b128 s[20:23], s[0:1], 0x8
	s_load_b32 s24, s[0:1], 0x18
	s_sub_co_i32 s25, 1, s12
	v_dual_mov_b32 v4, v0 :: v_dual_lshlrev_b32 v3, 3, v0
	s_wait_kmcnt 0x0
	s_add_nc_u64 s[16:17], s[20:21], s[16:17]
	s_lshl_b64 s[20:21], s[22:23], 3
	s_load_b64 s[16:17], s[16:17], 0x0
	s_mul_i32 s22, s24, s25
	s_cmp_lt_i32 s24, 1
	s_cselect_b32 s22, s22, 0
	s_delay_alu instid0(SALU_CYCLE_1)
	v_mad_u32 v1, v0, s24, s22
	s_wait_kmcnt 0x0
	s_add_nc_u64 s[16:17], s[16:17], s[20:21]
	s_lshl_b32 s20, s24, 9
.LBB13_2:                               ; =>This Inner Loop Header: Depth=1
	flat_load_b64 v[6:7], v1, s[16:17] scale_offset
	v_add_nc_u32_e32 v4, 0x200, v4
	s_wait_xcnt 0x0
	v_add_nc_u32_e32 v1, s20, v1
	s_delay_alu instid0(VALU_DEP_2)
	v_cmp_le_i32_e32 vcc_lo, s12, v4
	s_or_b32 s19, vcc_lo, s19
	s_wait_loadcnt_dscnt 0x0
	ds_store_b64 v3, v[6:7]
	v_add_nc_u32_e32 v3, 0x1000, v3
	s_and_not1_b32 exec_lo, exec_lo, s19
	s_cbranch_execnz .LBB13_2
.LBB13_3:
	s_or_b32 exec_lo, exec_lo, s18
	s_bfe_u32 s16, ttmp6, 0x40010
	s_bfe_u32 s17, ttmp6, 0x40004
	s_add_co_i32 s16, s16, 1
	s_wait_dscnt 0x0
	s_mul_i32 s16, ttmp7, s16
	s_barrier_signal -1
	s_add_co_i32 s17, s17, s16
	s_cmp_eq_u32 s3, 0
	s_barrier_wait -1
	s_cselect_b32 s18, ttmp7, s17
	s_delay_alu instid0(SALU_CYCLE_1)
	s_cmp_ge_i32 s18, s13
	s_cbranch_scc1 .LBB13_37
; %bb.4:
	v_xad_u32 v4, v0, -1, s12
	s_load_b32 s19, s[0:1], 0x48
	v_dual_lshrrev_b32 v7, 2, v0 :: v_dual_bitop2_b32 v5, 31, v0 bitop3:0x40
	s_lshl_b64 s[10:11], s[10:11], 3
	s_delay_alu instid0(VALU_DEP_2)
	v_dual_mov_b32 v3, 0 :: v_dual_lshrrev_b32 v6, 9, v4
	v_mbcnt_lo_u32_b32 v14, -1, 0
	s_mul_u64 s[6:7], s[6:7], s[14:15]
	s_wait_kmcnt 0x0
	s_add_nc_u64 s[8:9], s[8:9], s[10:11]
	v_dual_add_nc_u32 v8, -1, v6 :: v_dual_add_nc_u32 v6, 1, v6
	s_lshl_b64 s[6:7], s[6:7], 3
	v_cmp_eq_u32_e64 s1, 0, v5
	v_cmp_lt_u32_e64 s3, 0x1ff, v4
	s_delay_alu instid0(VALU_DEP_3) | instskip(SKIP_3) | instid1(VALU_DEP_4)
	v_dual_mov_b32 v20, 0x4008 :: v_dual_lshrrev_b32 v9, 1, v8
	v_and_b32_e32 v10, 0xfffffe, v6
	v_add_nc_u64_e32 v[4:5], s[8:9], v[2:3]
	v_cmp_eq_u32_e64 s0, 0, v0
	v_dual_mov_b32 v22, 0x4028 :: v_dual_add_nc_u32 v9, 1, v9
	s_delay_alu instid0(VALU_DEP_4) | instskip(SKIP_2) | instid1(VALU_DEP_3)
	v_lshl_or_b32 v18, v10, 9, v0
	v_or_b32_e32 v1, 0x200, v0
	s_add_nc_u64 s[10:11], s[4:5], s[6:7]
	v_and_b32_e32 v17, 3, v9
	v_lshl_or_b32 v15, v14, 2, 64
	v_or_b32_e32 v16, 0x4000, v7
	v_cmp_lt_u32_e64 s4, 5, v8
	v_cmp_ne_u32_e64 s5, v6, v10
	v_and_b32_e32 v19, -4, v9
	v_mov_b32_e32 v21, 0x4018
	v_mov_b32_e32 v23, 0x4038
	;; [unrolled: 1-line block ×4, first 2 shown]
	v_dual_mov_b32 v26, 0x4068 :: v_dual_lshlrev_b32 v27, 3, v18
	v_cmp_ne_u32_e64 s6, 0, v17
	s_cmp_gt_i32 s12, 1
	s_mul_i32 s14, s18, s19
	s_cselect_b32 s7, -1, 0
	s_lshl_b32 s20, s19, 6
	s_branch .LBB13_6
.LBB13_5:                               ;   in Loop: Header=BB13_6 Depth=1
	s_or_b32 exec_lo, exec_lo, s15
	s_add_co_i32 s18, s18, 64
	s_add_co_i32 s14, s14, s20
	s_cmp_ge_i32 s18, s13
	s_cbranch_scc1 .LBB13_37
.LBB13_6:                               ; =>This Loop Header: Depth=1
                                        ;     Child Loop BB13_8 Depth 2
                                        ;     Child Loop BB13_26 Depth 2
	;; [unrolled: 1-line block ×4, first 2 shown]
	v_mov_b64_e32 v[6:7], 0
	s_ashr_i32 s15, s14, 31
	s_delay_alu instid0(SALU_CYCLE_1)
	s_lshl_b64 s[16:17], s[14:15], 3
	s_and_saveexec_b32 s15, s2
	s_cbranch_execz .LBB13_10
; %bb.7:                                ;   in Loop: Header=BB13_6 Depth=1
	v_dual_mov_b32 v6, 0 :: v_dual_mov_b32 v10, v2
	v_add_nc_u64_e32 v[8:9], s[16:17], v[4:5]
	v_mov_b32_e32 v11, v0
	s_mov_b32 s21, 0
	s_delay_alu instid0(VALU_DEP_3)
	v_mov_b32_e32 v7, v6
.LBB13_8:                               ;   Parent Loop BB13_6 Depth=1
                                        ; =>  This Inner Loop Header: Depth=2
	flat_load_b64 v[12:13], v[8:9]
	ds_load_b64 v[28:29], v10
	s_wait_xcnt 0x0
	v_add_nc_u64_e32 v[8:9], 0x1000, v[8:9]
	v_add_nc_u32_e32 v11, 0x200, v11
	v_add_nc_u32_e32 v10, 0x1000, v10
	s_delay_alu instid0(VALU_DEP_2)
	v_cmp_le_i32_e32 vcc_lo, s12, v11
	s_or_b32 s21, vcc_lo, s21
	s_wait_dscnt 0x0
	v_mov_b32_e32 v32, v29
	s_wait_loadcnt 0x0
	v_pk_mul_f32 v[30:31], v[12:13], v[28:29] op_sel_hi:[1,0]
	s_delay_alu instid0(VALU_DEP_1) | instskip(NEXT) | instid1(VALU_DEP_3)
	v_pk_fma_f32 v[28:29], v[12:13], v[28:29], v[30:31] op_sel:[1,1,0] op_sel_hi:[0,1,1] neg_lo:[0,0,1] neg_hi:[0,0,1]
	v_pk_fma_f32 v[12:13], v[12:13], v[32:33], v[30:31] op_sel:[1,0,0] op_sel_hi:[0,1,1]
	s_delay_alu instid0(VALU_DEP_2) | instskip(NEXT) | instid1(VALU_DEP_1)
	v_mov_b32_e32 v13, v29
	v_pk_add_f32 v[6:7], v[6:7], v[12:13]
	s_and_not1_b32 exec_lo, exec_lo, s21
	s_cbranch_execnz .LBB13_8
; %bb.9:                                ;   in Loop: Header=BB13_6 Depth=1
	s_or_b32 exec_lo, exec_lo, s21
.LBB13_10:                              ;   in Loop: Header=BB13_6 Depth=1
	s_delay_alu instid0(SALU_CYCLE_1) | instskip(NEXT) | instid1(SALU_CYCLE_1)
	s_or_b32 exec_lo, exec_lo, s15
	s_and_b32 vcc_lo, exec_lo, s7
	s_cbranch_vccz .LBB13_17
; %bb.11:                               ;   in Loop: Header=BB13_6 Depth=1
	v_cmp_ne_u32_e32 vcc_lo, 31, v14
	v_add_co_ci_u32_e64 v8, null, 0, v14, vcc_lo
	v_cmp_gt_u32_e32 vcc_lo, 30, v14
	s_delay_alu instid0(VALU_DEP_2)
	v_lshlrev_b32_e32 v9, 2, v8
	v_cndmask_b32_e64 v10, 0, 2, vcc_lo
	v_cmp_gt_u32_e32 vcc_lo, 28, v14
	ds_bpermute_b32 v8, v9, v6
	ds_bpermute_b32 v9, v9, v7
	v_add_lshl_u32 v11, v10, v14, 2
	v_cndmask_b32_e64 v12, 0, 4, vcc_lo
	v_cmp_gt_u32_e32 vcc_lo, 24, v14
	s_delay_alu instid0(VALU_DEP_2)
	v_add_lshl_u32 v12, v12, v14, 2
	s_wait_dscnt 0x0
	v_pk_add_f32 v[8:9], v[6:7], v[8:9]
	ds_bpermute_b32 v10, v11, v8
	ds_bpermute_b32 v11, v11, v9
	s_wait_dscnt 0x0
	v_pk_add_f32 v[8:9], v[8:9], v[10:11]
	ds_bpermute_b32 v10, v12, v8
	ds_bpermute_b32 v11, v12, v9
	v_cndmask_b32_e64 v12, 0, 8, vcc_lo
	s_delay_alu instid0(VALU_DEP_1)
	v_add_lshl_u32 v12, v12, v14, 2
	s_wait_dscnt 0x0
	v_pk_add_f32 v[8:9], v[8:9], v[10:11]
	ds_bpermute_b32 v10, v12, v8
	ds_bpermute_b32 v11, v12, v9
	s_wait_dscnt 0x0
	v_pk_add_f32 v[8:9], v[8:9], v[10:11]
	ds_bpermute_b32 v10, v15, v8
	ds_bpermute_b32 v11, v15, v9
	s_wait_dscnt 0x0
	v_pk_add_f32 v[8:9], v[8:9], v[10:11]
	s_and_saveexec_b32 s15, s1
; %bb.12:                               ;   in Loop: Header=BB13_6 Depth=1
	ds_store_2addr_b32 v16, v8, v9 offset1:1
; %bb.13:                               ;   in Loop: Header=BB13_6 Depth=1
	s_or_b32 exec_lo, exec_lo, s15
	s_mov_b32 s21, 0
	s_mov_b32 s15, 0
	s_wait_dscnt 0x0
	s_barrier_signal -1
	s_barrier_wait -1
                                        ; implicit-def: $vgpr10_vgpr11
	s_and_saveexec_b32 s22, s0
	s_delay_alu instid0(SALU_CYCLE_1)
	s_xor_b32 s22, exec_lo, s22
	s_cbranch_execz .LBB13_15
; %bb.14:                               ;   in Loop: Header=BB13_6 Depth=1
	ds_load_2addr_b64 v[10:13], v20 offset1:1
	ds_load_2addr_b64 v[28:31], v21 offset1:1
	;; [unrolled: 1-line block ×3, first 2 shown]
	s_mov_b32 s15, exec_lo
	s_wait_dscnt 0x2
	v_pk_add_f32 v[8:9], v[8:9], v[10:11]
	s_delay_alu instid0(VALU_DEP_1) | instskip(SKIP_3) | instid1(VALU_DEP_1)
	v_pk_add_f32 v[12:13], v[8:9], v[12:13]
	ds_load_2addr_b64 v[8:11], v23 offset1:1
	s_wait_dscnt 0x2
	v_pk_add_f32 v[12:13], v[12:13], v[28:29]
	v_pk_add_f32 v[12:13], v[12:13], v[30:31]
	ds_load_2addr_b64 v[28:31], v24 offset1:1
	s_wait_dscnt 0x2
	v_pk_add_f32 v[12:13], v[12:13], v[32:33]
	s_delay_alu instid0(VALU_DEP_1) | instskip(SKIP_3) | instid1(VALU_DEP_1)
	v_pk_add_f32 v[12:13], v[12:13], v[34:35]
	ds_load_2addr_b64 v[32:35], v25 offset1:1
	s_wait_dscnt 0x2
	v_pk_add_f32 v[8:9], v[12:13], v[8:9]
	v_pk_add_f32 v[8:9], v[8:9], v[10:11]
	s_wait_dscnt 0x1
	s_delay_alu instid0(VALU_DEP_1) | instskip(SKIP_4) | instid1(VALU_DEP_1)
	v_pk_add_f32 v[12:13], v[8:9], v[28:29]
	ds_load_2addr_b64 v[8:11], v26 offset1:1
	ds_load_b64 v[28:29], v3 offset:16504
	v_pk_add_f32 v[12:13], v[12:13], v[30:31]
	s_wait_dscnt 0x2
	v_pk_add_f32 v[12:13], v[12:13], v[32:33]
	s_delay_alu instid0(VALU_DEP_1) | instskip(SKIP_1) | instid1(VALU_DEP_1)
	v_pk_add_f32 v[12:13], v[12:13], v[34:35]
	s_wait_dscnt 0x1
	v_pk_add_f32 v[8:9], v[12:13], v[8:9]
	s_delay_alu instid0(VALU_DEP_1) | instskip(SKIP_1) | instid1(VALU_DEP_1)
	v_pk_add_f32 v[8:9], v[8:9], v[10:11]
	s_wait_dscnt 0x0
	v_pk_add_f32 v[10:11], v[8:9], v[28:29]
.LBB13_15:                              ;   in Loop: Header=BB13_6 Depth=1
	s_or_b32 exec_lo, exec_lo, s22
	s_delay_alu instid0(SALU_CYCLE_1)
	s_and_b32 vcc_lo, exec_lo, s21
	s_cbranch_vccnz .LBB13_18
.LBB13_16:                              ;   in Loop: Header=BB13_6 Depth=1
	s_delay_alu instid0(VALU_DEP_1)
	v_mov_b64_e32 v[6:7], v[10:11]
	s_and_saveexec_b32 s21, s15
	s_cbranch_execnz .LBB13_19
	s_branch .LBB13_20
.LBB13_17:                              ;   in Loop: Header=BB13_6 Depth=1
	s_mov_b32 s15, 0
                                        ; implicit-def: $vgpr10_vgpr11
	s_cbranch_execz .LBB13_16
.LBB13_18:                              ;   in Loop: Header=BB13_6 Depth=1
	s_and_not1_b32 s15, s15, exec_lo
	s_and_b32 s21, s0, exec_lo
	s_delay_alu instid0(SALU_CYCLE_1) | instskip(NEXT) | instid1(SALU_CYCLE_1)
	s_or_b32 s15, s15, s21
	s_and_saveexec_b32 s21, s15
.LBB13_19:                              ;   in Loop: Header=BB13_6 Depth=1
	ds_store_b64 v3, v[6:7] offset:16384
.LBB13_20:                              ;   in Loop: Header=BB13_6 Depth=1
	s_or_b32 exec_lo, exec_lo, s21
	s_wait_dscnt 0x0
	s_barrier_signal -1
	s_barrier_wait -1
	s_and_saveexec_b32 s15, s2
	s_cbranch_execz .LBB13_5
; %bb.21:                               ;   in Loop: Header=BB13_6 Depth=1
	global_load_b64 v[10:11], v3, s[10:11]
	ds_load_b64 v[12:13], v3 offset:16384
	s_mov_b32 s22, 0
                                        ; implicit-def: $vgpr28
	s_wait_loadcnt_dscnt 0x0
	v_dual_mul_f32 v6, v11, v13 :: v_dual_mul_f32 v7, v11, v12
	v_xor_b32_e32 v9, 0x80000000, v10
	s_delay_alu instid0(VALU_DEP_2) | instskip(NEXT) | instid1(VALU_DEP_3)
	v_xor_b32_e32 v6, 0x80000000, v6
	v_xor_b32_e32 v8, 0x80000000, v7
	s_delay_alu instid0(VALU_DEP_2) | instskip(NEXT) | instid1(VALU_DEP_2)
	v_fmac_f32_e32 v6, v12, v9
	v_fmac_f32_e32 v8, v10, v13
	s_wait_xcnt 0x0
	s_and_saveexec_b32 s21, s3
	s_delay_alu instid0(SALU_CYCLE_1)
	s_xor_b32 s21, exec_lo, s21
	s_cbranch_execnz .LBB13_24
; %bb.22:                               ;   in Loop: Header=BB13_6 Depth=1
	s_or_saveexec_b32 s21, s21
	v_mov_b32_e32 v10, v18
	s_xor_b32 exec_lo, exec_lo, s21
	s_cbranch_execnz .LBB13_34
.LBB13_23:                              ;   in Loop: Header=BB13_6 Depth=1
	s_or_b32 exec_lo, exec_lo, s21
	s_delay_alu instid0(SALU_CYCLE_1)
	s_and_b32 exec_lo, exec_lo, s22
	s_cbranch_execz .LBB13_5
	s_branch .LBB13_35
.LBB13_24:                              ;   in Loop: Header=BB13_6 Depth=1
	v_mov_b64_e32 v[10:11], v[0:1]
	v_dual_mov_b32 v7, v6 :: v_dual_mov_b32 v9, v8
	v_mov_b32_e32 v28, 0
	s_mul_i32 s22, s18, s19
	s_and_saveexec_b32 s23, s4
	s_cbranch_execz .LBB13_28
; %bb.25:                               ;   in Loop: Header=BB13_6 Depth=1
	v_mov_b64_e32 v[10:11], v[0:1]
	v_dual_mov_b32 v12, v19 :: v_dual_mov_b32 v13, v2
	s_add_co_i32 s24, s22, 0x400
	s_add_co_i32 s25, s22, 0x800
	;; [unrolled: 1-line block ×3, first 2 shown]
	s_mov_b32 s26, s24
	s_mov_b32 s27, s25
	s_mov_b32 s30, s28
	s_mov_b32 s29, 0
	s_mov_b32 s31, 0
.LBB13_26:                              ;   Parent Loop BB13_6 Depth=1
                                        ; =>  This Inner Loop Header: Depth=2
	v_dual_add_nc_u32 v38, s22, v10 :: v_dual_add_nc_u32 v39, s22, v11
	v_dual_add_nc_u32 v40, s26, v11 :: v_dual_add_nc_u32 v41, s24, v10
	s_add_co_i32 s31, s31, 8
	s_clause 0x1
	flat_load_b64 v[32:33], v38, s[8:9] scale_offset
	flat_load_b64 v[34:35], v39, s[8:9] scale_offset
	ds_load_2addr_stride64_b64 v[28:31], v13 offset1:8
	s_wait_dscnt 0x0
	v_dual_mov_b32 v37, v30 :: v_dual_add_nc_u32 v12, -4, v12
	v_dual_mov_b32 v30, v29 :: v_dual_mov_b32 v36, v28
	s_delay_alu instid0(VALU_DEP_1) | instskip(SKIP_1) | instid1(VALU_DEP_2)
	v_pk_mul_f32 v[28:29], v[8:9], v[30:31]
	v_pk_mul_f32 v[30:31], v[6:7], v[30:31]
	v_pk_fma_f32 v[28:29], v[6:7], v[36:37], v[28:29] neg_lo:[0,0,1] neg_hi:[0,0,1]
	s_delay_alu instid0(VALU_DEP_2) | instskip(SKIP_3) | instid1(VALU_DEP_2)
	v_pk_fma_f32 v[30:31], v[8:9], v[36:37], v[30:31]
	s_wait_loadcnt 0x0
	v_dual_mov_b32 v36, v32 :: v_dual_mov_b32 v37, v34
	v_mov_b32_e32 v34, v33
	v_pk_add_f32 v[28:29], v[36:37], v[28:29]
	s_delay_alu instid0(VALU_DEP_2) | instskip(NEXT) | instid1(VALU_DEP_1)
	v_pk_add_f32 v[30:31], v[30:31], v[34:35]
	v_dual_mov_b32 v32, v28 :: v_dual_mov_b32 v33, v30
	s_delay_alu instid0(VALU_DEP_3)
	v_mov_b32_e32 v30, v29
	s_clause 0x3
	flat_store_b64 v38, v[32:33], s[8:9] scale_offset
	flat_store_b64 v39, v[30:31], s[8:9] scale_offset
	flat_load_b64 v[32:33], v41, s[8:9] scale_offset
	flat_load_b64 v[34:35], v40, s[8:9] scale_offset
	s_wait_xcnt 0x2
	ds_load_2addr_stride64_b64 v[28:31], v13 offset0:16 offset1:24
	v_dual_add_nc_u32 v39, s25, v10 :: v_dual_add_nc_u32 v38, s27, v11
	s_wait_dscnt 0x0
	v_dual_mov_b32 v37, v30 :: v_dual_mov_b32 v30, v29
	v_mov_b32_e32 v36, v28
	s_delay_alu instid0(VALU_DEP_2) | instskip(SKIP_1) | instid1(VALU_DEP_2)
	v_pk_mul_f32 v[28:29], v[8:9], v[30:31]
	v_pk_mul_f32 v[30:31], v[6:7], v[30:31]
	v_pk_fma_f32 v[28:29], v[6:7], v[36:37], v[28:29] neg_lo:[0,0,1] neg_hi:[0,0,1]
	s_delay_alu instid0(VALU_DEP_2) | instskip(SKIP_2) | instid1(VALU_DEP_1)
	v_pk_fma_f32 v[30:31], v[8:9], v[36:37], v[30:31]
	s_wait_loadcnt 0x0
	v_dual_mov_b32 v36, v32 :: v_dual_mov_b32 v37, v34
	v_pk_add_f32 v[28:29], v[36:37], v[28:29]
	s_delay_alu instid0(VALU_DEP_1) | instskip(NEXT) | instid1(VALU_DEP_1)
	v_dual_mov_b32 v34, v33 :: v_dual_mov_b32 v32, v28
	v_pk_add_f32 v[30:31], v[30:31], v[34:35]
	s_delay_alu instid0(VALU_DEP_1)
	v_dual_mov_b32 v33, v30 :: v_dual_mov_b32 v30, v29
	s_clause 0x3
	flat_store_b64 v41, v[32:33], s[8:9] scale_offset
	flat_store_b64 v40, v[30:31], s[8:9] scale_offset
	flat_load_b64 v[32:33], v39, s[8:9] scale_offset
	flat_load_b64 v[34:35], v38, s[8:9] scale_offset
	s_wait_xcnt 0x2
	ds_load_2addr_stride64_b64 v[28:31], v13 offset0:32 offset1:40
	v_dual_add_nc_u32 v40, s30, v11 :: v_dual_add_nc_u32 v41, s28, v10
	v_add_nc_u32_e32 v11, 0x1000, v11
	s_wait_dscnt 0x0
	v_dual_mov_b32 v37, v30 :: v_dual_mov_b32 v30, v29
	v_mov_b32_e32 v36, v28
	s_delay_alu instid0(VALU_DEP_2) | instskip(SKIP_1) | instid1(VALU_DEP_2)
	v_pk_mul_f32 v[28:29], v[8:9], v[30:31]
	v_pk_mul_f32 v[30:31], v[6:7], v[30:31]
	v_pk_fma_f32 v[28:29], v[6:7], v[36:37], v[28:29] neg_lo:[0,0,1] neg_hi:[0,0,1]
	s_delay_alu instid0(VALU_DEP_2) | instskip(SKIP_3) | instid1(VALU_DEP_2)
	v_pk_fma_f32 v[30:31], v[8:9], v[36:37], v[30:31]
	s_wait_loadcnt 0x0
	v_dual_mov_b32 v36, v32 :: v_dual_mov_b32 v37, v34
	v_mov_b32_e32 v34, v33
	v_pk_add_f32 v[28:29], v[36:37], v[28:29]
	s_delay_alu instid0(VALU_DEP_2) | instskip(NEXT) | instid1(VALU_DEP_1)
	v_pk_add_f32 v[30:31], v[30:31], v[34:35]
	v_dual_mov_b32 v32, v28 :: v_dual_mov_b32 v33, v30
	s_delay_alu instid0(VALU_DEP_3)
	v_mov_b32_e32 v30, v29
	s_clause 0x3
	flat_store_b64 v39, v[32:33], s[8:9] scale_offset
	flat_store_b64 v38, v[30:31], s[8:9] scale_offset
	flat_load_b64 v[32:33], v41, s[8:9] scale_offset
	flat_load_b64 v[34:35], v40, s[8:9] scale_offset
	s_wait_xcnt 0x2
	ds_load_2addr_stride64_b64 v[28:31], v13 offset0:48 offset1:56
	v_add_nc_u32_e32 v13, 0x8000, v13
	s_wait_dscnt 0x0
	v_dual_mov_b32 v37, v30 :: v_dual_mov_b32 v30, v29
	v_mov_b32_e32 v36, v28
	s_delay_alu instid0(VALU_DEP_2) | instskip(SKIP_1) | instid1(VALU_DEP_2)
	v_pk_mul_f32 v[28:29], v[8:9], v[30:31]
	v_pk_mul_f32 v[30:31], v[6:7], v[30:31]
	v_pk_fma_f32 v[28:29], v[6:7], v[36:37], v[28:29] neg_lo:[0,0,1] neg_hi:[0,0,1]
	s_delay_alu instid0(VALU_DEP_2) | instskip(SKIP_3) | instid1(VALU_DEP_2)
	v_pk_fma_f32 v[30:31], v[8:9], v[36:37], v[30:31]
	s_wait_loadcnt 0x0
	v_dual_mov_b32 v36, v32 :: v_dual_mov_b32 v37, v34
	v_mov_b32_e32 v34, v33
	v_pk_add_f32 v[32:33], v[36:37], v[28:29]
	s_delay_alu instid0(VALU_DEP_2) | instskip(SKIP_3) | instid1(VALU_DEP_4)
	v_pk_add_f32 v[30:31], v[30:31], v[34:35]
	v_mov_b32_e32 v28, s31
	v_cmp_eq_u32_e32 vcc_lo, 0, v12
	v_add_nc_u32_e32 v10, 0x1000, v10
	v_dual_mov_b32 v34, v32 :: v_dual_mov_b32 v35, v30
	v_mov_b32_e32 v30, v33
	s_or_b32 s29, vcc_lo, s29
	s_clause 0x1
	flat_store_b64 v41, v[34:35], s[8:9] scale_offset
	flat_store_b64 v40, v[30:31], s[8:9] scale_offset
	s_wait_xcnt 0x0
	s_and_not1_b32 exec_lo, exec_lo, s29
	s_cbranch_execnz .LBB13_26
; %bb.27:                               ;   in Loop: Header=BB13_6 Depth=1
	s_or_b32 exec_lo, exec_lo, s29
.LBB13_28:                              ;   in Loop: Header=BB13_6 Depth=1
	s_delay_alu instid0(SALU_CYCLE_1)
	s_or_b32 exec_lo, exec_lo, s23
	s_and_saveexec_b32 s23, s6
	s_cbranch_execz .LBB13_31
; %bb.29:                               ;   in Loop: Header=BB13_6 Depth=1
	v_lshl_or_b32 v12, v28, 12, v2
	v_mov_b32_e32 v13, v17
	s_mov_b32 s24, 0
.LBB13_30:                              ;   Parent Loop BB13_6 Depth=1
                                        ; =>  This Inner Loop Header: Depth=2
	v_dual_add_nc_u32 v38, s22, v10 :: v_dual_add_nc_u32 v39, s22, v11
	v_add_nc_u32_e32 v10, 0x400, v10
	s_clause 0x1
	flat_load_b64 v[32:33], v38, s[8:9] scale_offset
	flat_load_b64 v[34:35], v39, s[8:9] scale_offset
	ds_load_2addr_stride64_b64 v[28:31], v12 offset1:8
	s_wait_dscnt 0x0
	v_dual_mov_b32 v37, v30 :: v_dual_add_nc_u32 v12, 0x2000, v12
	v_dual_mov_b32 v30, v29 :: v_dual_mov_b32 v36, v28
	s_delay_alu instid0(VALU_DEP_1) | instskip(SKIP_1) | instid1(VALU_DEP_2)
	v_pk_mul_f32 v[28:29], v[8:9], v[30:31]
	v_pk_mul_f32 v[30:31], v[6:7], v[30:31]
	v_pk_fma_f32 v[28:29], v[6:7], v[36:37], v[28:29] neg_lo:[0,0,1] neg_hi:[0,0,1]
	s_delay_alu instid0(VALU_DEP_2) | instskip(SKIP_3) | instid1(VALU_DEP_2)
	v_pk_fma_f32 v[30:31], v[8:9], v[36:37], v[30:31]
	s_wait_loadcnt 0x0
	v_dual_mov_b32 v36, v32 :: v_dual_mov_b32 v37, v34
	v_mov_b32_e32 v34, v33
	v_pk_add_f32 v[28:29], v[36:37], v[28:29]
	s_delay_alu instid0(VALU_DEP_2) | instskip(SKIP_1) | instid1(VALU_DEP_3)
	v_pk_add_f32 v[30:31], v[30:31], v[34:35]
	v_add_nc_u32_e32 v13, -1, v13
	v_dual_mov_b32 v32, v28 :: v_dual_add_nc_u32 v11, 0x400, v11
	s_delay_alu instid0(VALU_DEP_3) | instskip(NEXT) | instid1(VALU_DEP_3)
	v_mov_b32_e32 v33, v30
	v_cmp_eq_u32_e32 vcc_lo, 0, v13
	v_mov_b32_e32 v30, v29
	s_clause 0x1
	flat_store_b64 v38, v[32:33], s[8:9] scale_offset
	flat_store_b64 v39, v[30:31], s[8:9] scale_offset
	s_or_b32 s24, vcc_lo, s24
	s_wait_xcnt 0x0
	s_and_not1_b32 exec_lo, exec_lo, s24
	s_cbranch_execnz .LBB13_30
.LBB13_31:                              ;   in Loop: Header=BB13_6 Depth=1
	s_or_b32 exec_lo, exec_lo, s23
	s_mov_b32 s22, 0
	s_and_saveexec_b32 s23, s5
	s_delay_alu instid0(SALU_CYCLE_1)
	s_xor_b32 s23, exec_lo, s23
; %bb.32:                               ;   in Loop: Header=BB13_6 Depth=1
	s_mov_b32 s22, exec_lo
; %bb.33:                               ;   in Loop: Header=BB13_6 Depth=1
	s_or_b32 exec_lo, exec_lo, s23
	v_mov_b32_e32 v28, v27
	s_and_b32 s22, s22, exec_lo
	s_or_saveexec_b32 s21, s21
	v_mov_b32_e32 v10, v18
	s_xor_b32 exec_lo, exec_lo, s21
	s_cbranch_execz .LBB13_23
.LBB13_34:                              ;   in Loop: Header=BB13_6 Depth=1
	v_dual_mov_b32 v10, v0 :: v_dual_mov_b32 v28, v2
	s_or_b32 s22, s22, exec_lo
	s_or_b32 exec_lo, exec_lo, s21
	s_delay_alu instid0(SALU_CYCLE_1)
	s_and_b32 exec_lo, exec_lo, s22
	s_cbranch_execz .LBB13_5
.LBB13_35:                              ;   in Loop: Header=BB13_6 Depth=1
	v_dual_ashrrev_i32 v11, 31, v10 :: v_dual_mov_b32 v9, v8
	s_add_nc_u64 s[16:17], s[8:9], s[16:17]
	v_mov_b32_e32 v7, v6
	s_delay_alu instid0(VALU_DEP_2)
	v_lshl_add_u64 v[12:13], v[10:11], 3, s[16:17]
	s_mov_b32 s16, 0
.LBB13_36:                              ;   Parent Loop BB13_6 Depth=1
                                        ; =>  This Inner Loop Header: Depth=2
	flat_load_b64 v[30:31], v[12:13]
	ds_load_b64 v[32:33], v28
	v_add_nc_u32_e32 v28, 0x1000, v28
	v_add_nc_u32_e32 v10, 0x200, v10
	s_delay_alu instid0(VALU_DEP_1) | instskip(SKIP_3) | instid1(VALU_DEP_1)
	v_cmp_le_i32_e32 vcc_lo, s12, v10
	s_or_b32 s16, vcc_lo, s16
	s_wait_dscnt 0x0
	v_pk_mul_f32 v[34:35], v[8:9], v[32:33] op_sel:[0,1] op_sel_hi:[1,0]
	v_pk_fma_f32 v[36:37], v[6:7], v[32:33], v[34:35]
	v_pk_fma_f32 v[32:33], v[6:7], v[32:33], v[34:35] neg_lo:[0,0,1] neg_hi:[0,0,1]
	s_delay_alu instid0(VALU_DEP_2) | instskip(SKIP_1) | instid1(VALU_DEP_1)
	v_mov_b32_e32 v33, v37
	s_wait_loadcnt 0x0
	v_pk_add_f32 v[30:31], v[30:31], v[32:33]
	flat_store_b64 v[12:13], v[30:31]
	s_wait_xcnt 0x0
	v_add_nc_u64_e32 v[12:13], 0x1000, v[12:13]
	s_and_not1_b32 exec_lo, exec_lo, s16
	s_cbranch_execnz .LBB13_36
	s_branch .LBB13_5
.LBB13_37:
	s_endpgm
	.section	.rodata,"a",@progbits
	.p2align	6, 0x0
	.amdhsa_kernel _ZN9rocsolver6v33100L22larf_left_kernel_smallILi512E19rocblas_complex_numIfEiPKPS3_EEvT1_S7_T2_lS7_lPKT0_lS8_lS7_l
		.amdhsa_group_segment_fixed_size 20480
		.amdhsa_private_segment_fixed_size 0
		.amdhsa_kernarg_size 88
		.amdhsa_user_sgpr_count 2
		.amdhsa_user_sgpr_dispatch_ptr 0
		.amdhsa_user_sgpr_queue_ptr 0
		.amdhsa_user_sgpr_kernarg_segment_ptr 1
		.amdhsa_user_sgpr_dispatch_id 0
		.amdhsa_user_sgpr_kernarg_preload_length 0
		.amdhsa_user_sgpr_kernarg_preload_offset 0
		.amdhsa_user_sgpr_private_segment_size 0
		.amdhsa_wavefront_size32 1
		.amdhsa_uses_dynamic_stack 0
		.amdhsa_enable_private_segment 0
		.amdhsa_system_sgpr_workgroup_id_x 1
		.amdhsa_system_sgpr_workgroup_id_y 1
		.amdhsa_system_sgpr_workgroup_id_z 0
		.amdhsa_system_sgpr_workgroup_info 0
		.amdhsa_system_vgpr_workitem_id 0
		.amdhsa_next_free_vgpr 42
		.amdhsa_next_free_sgpr 32
		.amdhsa_named_barrier_count 0
		.amdhsa_reserve_vcc 1
		.amdhsa_float_round_mode_32 0
		.amdhsa_float_round_mode_16_64 0
		.amdhsa_float_denorm_mode_32 3
		.amdhsa_float_denorm_mode_16_64 3
		.amdhsa_fp16_overflow 0
		.amdhsa_memory_ordered 1
		.amdhsa_forward_progress 1
		.amdhsa_inst_pref_size 24
		.amdhsa_round_robin_scheduling 0
		.amdhsa_exception_fp_ieee_invalid_op 0
		.amdhsa_exception_fp_denorm_src 0
		.amdhsa_exception_fp_ieee_div_zero 0
		.amdhsa_exception_fp_ieee_overflow 0
		.amdhsa_exception_fp_ieee_underflow 0
		.amdhsa_exception_fp_ieee_inexact 0
		.amdhsa_exception_int_div_zero 0
	.end_amdhsa_kernel
	.section	.text._ZN9rocsolver6v33100L22larf_left_kernel_smallILi512E19rocblas_complex_numIfEiPKPS3_EEvT1_S7_T2_lS7_lPKT0_lS8_lS7_l,"axG",@progbits,_ZN9rocsolver6v33100L22larf_left_kernel_smallILi512E19rocblas_complex_numIfEiPKPS3_EEvT1_S7_T2_lS7_lPKT0_lS8_lS7_l,comdat
.Lfunc_end13:
	.size	_ZN9rocsolver6v33100L22larf_left_kernel_smallILi512E19rocblas_complex_numIfEiPKPS3_EEvT1_S7_T2_lS7_lPKT0_lS8_lS7_l, .Lfunc_end13-_ZN9rocsolver6v33100L22larf_left_kernel_smallILi512E19rocblas_complex_numIfEiPKPS3_EEvT1_S7_T2_lS7_lPKT0_lS8_lS7_l
                                        ; -- End function
	.set _ZN9rocsolver6v33100L22larf_left_kernel_smallILi512E19rocblas_complex_numIfEiPKPS3_EEvT1_S7_T2_lS7_lPKT0_lS8_lS7_l.num_vgpr, 42
	.set _ZN9rocsolver6v33100L22larf_left_kernel_smallILi512E19rocblas_complex_numIfEiPKPS3_EEvT1_S7_T2_lS7_lPKT0_lS8_lS7_l.num_agpr, 0
	.set _ZN9rocsolver6v33100L22larf_left_kernel_smallILi512E19rocblas_complex_numIfEiPKPS3_EEvT1_S7_T2_lS7_lPKT0_lS8_lS7_l.numbered_sgpr, 32
	.set _ZN9rocsolver6v33100L22larf_left_kernel_smallILi512E19rocblas_complex_numIfEiPKPS3_EEvT1_S7_T2_lS7_lPKT0_lS8_lS7_l.num_named_barrier, 0
	.set _ZN9rocsolver6v33100L22larf_left_kernel_smallILi512E19rocblas_complex_numIfEiPKPS3_EEvT1_S7_T2_lS7_lPKT0_lS8_lS7_l.private_seg_size, 0
	.set _ZN9rocsolver6v33100L22larf_left_kernel_smallILi512E19rocblas_complex_numIfEiPKPS3_EEvT1_S7_T2_lS7_lPKT0_lS8_lS7_l.uses_vcc, 1
	.set _ZN9rocsolver6v33100L22larf_left_kernel_smallILi512E19rocblas_complex_numIfEiPKPS3_EEvT1_S7_T2_lS7_lPKT0_lS8_lS7_l.uses_flat_scratch, 1
	.set _ZN9rocsolver6v33100L22larf_left_kernel_smallILi512E19rocblas_complex_numIfEiPKPS3_EEvT1_S7_T2_lS7_lPKT0_lS8_lS7_l.has_dyn_sized_stack, 0
	.set _ZN9rocsolver6v33100L22larf_left_kernel_smallILi512E19rocblas_complex_numIfEiPKPS3_EEvT1_S7_T2_lS7_lPKT0_lS8_lS7_l.has_recursion, 0
	.set _ZN9rocsolver6v33100L22larf_left_kernel_smallILi512E19rocblas_complex_numIfEiPKPS3_EEvT1_S7_T2_lS7_lPKT0_lS8_lS7_l.has_indirect_call, 0
	.section	.AMDGPU.csdata,"",@progbits
; Kernel info:
; codeLenInByte = 2988
; TotalNumSgprs: 34
; NumVgprs: 42
; ScratchSize: 0
; MemoryBound: 0
; FloatMode: 240
; IeeeMode: 1
; LDSByteSize: 20480 bytes/workgroup (compile time only)
; SGPRBlocks: 0
; VGPRBlocks: 2
; NumSGPRsForWavesPerEU: 34
; NumVGPRsForWavesPerEU: 42
; NamedBarCnt: 0
; Occupancy: 16
; WaveLimiterHint : 1
; COMPUTE_PGM_RSRC2:SCRATCH_EN: 0
; COMPUTE_PGM_RSRC2:USER_SGPR: 2
; COMPUTE_PGM_RSRC2:TRAP_HANDLER: 0
; COMPUTE_PGM_RSRC2:TGID_X_EN: 1
; COMPUTE_PGM_RSRC2:TGID_Y_EN: 1
; COMPUTE_PGM_RSRC2:TGID_Z_EN: 0
; COMPUTE_PGM_RSRC2:TIDIG_COMP_CNT: 0
	.section	.text._ZN9rocsolver6v33100L22larf_left_kernel_smallILi1024E19rocblas_complex_numIfEiPKPS3_EEvT1_S7_T2_lS7_lPKT0_lS8_lS7_l,"axG",@progbits,_ZN9rocsolver6v33100L22larf_left_kernel_smallILi1024E19rocblas_complex_numIfEiPKPS3_EEvT1_S7_T2_lS7_lPKT0_lS8_lS7_l,comdat
	.globl	_ZN9rocsolver6v33100L22larf_left_kernel_smallILi1024E19rocblas_complex_numIfEiPKPS3_EEvT1_S7_T2_lS7_lPKT0_lS8_lS7_l ; -- Begin function _ZN9rocsolver6v33100L22larf_left_kernel_smallILi1024E19rocblas_complex_numIfEiPKPS3_EEvT1_S7_T2_lS7_lPKT0_lS8_lS7_l
	.p2align	8
	.type	_ZN9rocsolver6v33100L22larf_left_kernel_smallILi1024E19rocblas_complex_numIfEiPKPS3_EEvT1_S7_T2_lS7_lPKT0_lS8_lS7_l,@function
_ZN9rocsolver6v33100L22larf_left_kernel_smallILi1024E19rocblas_complex_numIfEiPKPS3_EEvT1_S7_T2_lS7_lPKT0_lS8_lS7_l: ; @_ZN9rocsolver6v33100L22larf_left_kernel_smallILi1024E19rocblas_complex_numIfEiPKPS3_EEvT1_S7_T2_lS7_lPKT0_lS8_lS7_l
; %bb.0:
	s_load_b256 s[4:11], s[0:1], 0x28
	s_bfe_u32 s2, ttmp6, 0x4000c
	s_and_b32 s12, ttmp6, 15
	s_add_co_i32 s2, s2, 1
	s_getreg_b32 s3, hwreg(HW_REG_IB_STS2, 6, 4)
	s_mul_i32 s2, ttmp9, s2
	v_lshlrev_b32_e32 v2, 3, v0
	s_add_co_i32 s12, s12, s2
	s_cmp_eq_u32 s3, 0
	s_mov_b32 s19, 0
	s_cselect_b32 s14, ttmp9, s12
	s_load_b64 s[12:13], s[0:1], 0x0
	s_ashr_i32 s15, s14, 31
	s_delay_alu instid0(SALU_CYCLE_1)
	s_lshl_b64 s[16:17], s[14:15], 3
	s_wait_kmcnt 0x0
	s_add_nc_u64 s[8:9], s[8:9], s[16:17]
	s_load_b64 s[8:9], s[8:9], 0x0
	v_cmp_gt_i32_e64 s2, s12, v0
	s_and_saveexec_b32 s18, s2
	s_cbranch_execz .LBB14_3
; %bb.1:
	s_clause 0x1
	s_load_b128 s[20:23], s[0:1], 0x8
	s_load_b32 s24, s[0:1], 0x18
	s_sub_co_i32 s25, 1, s12
	v_dual_mov_b32 v4, v0 :: v_dual_lshlrev_b32 v3, 3, v0
	s_wait_kmcnt 0x0
	s_add_nc_u64 s[16:17], s[20:21], s[16:17]
	s_lshl_b64 s[20:21], s[22:23], 3
	s_load_b64 s[16:17], s[16:17], 0x0
	s_mul_i32 s22, s24, s25
	s_cmp_lt_i32 s24, 1
	s_cselect_b32 s22, s22, 0
	s_delay_alu instid0(SALU_CYCLE_1)
	v_mad_u32 v1, v0, s24, s22
	s_wait_kmcnt 0x0
	s_add_nc_u64 s[16:17], s[16:17], s[20:21]
	s_lshl_b32 s20, s24, 10
.LBB14_2:                               ; =>This Inner Loop Header: Depth=1
	flat_load_b64 v[6:7], v1, s[16:17] scale_offset
	v_add_nc_u32_e32 v4, 0x400, v4
	s_wait_xcnt 0x0
	v_add_nc_u32_e32 v1, s20, v1
	s_delay_alu instid0(VALU_DEP_2)
	v_cmp_le_i32_e32 vcc_lo, s12, v4
	s_or_b32 s19, vcc_lo, s19
	s_wait_loadcnt_dscnt 0x0
	ds_store_b64 v3, v[6:7]
	v_add_nc_u32_e32 v3, 0x2000, v3
	s_and_not1_b32 exec_lo, exec_lo, s19
	s_cbranch_execnz .LBB14_2
.LBB14_3:
	s_or_b32 exec_lo, exec_lo, s18
	s_bfe_u32 s16, ttmp6, 0x40010
	s_bfe_u32 s17, ttmp6, 0x40004
	s_add_co_i32 s16, s16, 1
	s_wait_dscnt 0x0
	s_mul_i32 s16, ttmp7, s16
	s_barrier_signal -1
	s_add_co_i32 s17, s17, s16
	s_cmp_eq_u32 s3, 0
	s_barrier_wait -1
	s_cselect_b32 s18, ttmp7, s17
	s_delay_alu instid0(SALU_CYCLE_1)
	s_cmp_ge_i32 s18, s13
	s_cbranch_scc1 .LBB14_37
; %bb.4:
	v_xad_u32 v4, v0, -1, s12
	s_load_b32 s19, s[0:1], 0x48
	v_dual_lshrrev_b32 v7, 2, v0 :: v_dual_bitop2_b32 v5, 31, v0 bitop3:0x40
	s_lshl_b64 s[10:11], s[10:11], 3
	s_delay_alu instid0(VALU_DEP_2)
	v_dual_mov_b32 v3, 0 :: v_dual_lshrrev_b32 v6, 10, v4
	v_mbcnt_lo_u32_b32 v14, -1, 0
	s_mul_u64 s[6:7], s[6:7], s[14:15]
	s_wait_kmcnt 0x0
	s_add_nc_u64 s[8:9], s[8:9], s[10:11]
	v_dual_add_nc_u32 v8, -1, v6 :: v_dual_add_nc_u32 v6, 1, v6
	s_lshl_b64 s[6:7], s[6:7], 3
	v_cmp_eq_u32_e64 s1, 0, v5
	v_cmp_lt_u32_e64 s3, 0x3ff, v4
	s_delay_alu instid0(VALU_DEP_3) | instskip(SKIP_3) | instid1(VALU_DEP_4)
	v_dual_mov_b32 v20, 0x4008 :: v_dual_lshrrev_b32 v9, 1, v8
	v_and_b32_e32 v10, 0x7ffffe, v6
	v_add_nc_u64_e32 v[4:5], s[8:9], v[2:3]
	v_cmp_eq_u32_e64 s0, 0, v0
	v_dual_mov_b32 v22, 0x4028 :: v_dual_add_nc_u32 v9, 1, v9
	v_or_b32_e32 v1, 0x400, v0
	s_add_nc_u64 s[10:11], s[4:5], s[6:7]
	v_lshl_or_b32 v15, v14, 2, 64
	s_delay_alu instid0(VALU_DEP_3)
	v_and_b32_e32 v17, 3, v9
	v_or_b32_e32 v16, 0x4000, v7
	v_cmp_lt_u32_e64 s4, 5, v8
	v_lshl_or_b32 v18, v10, 10, v0
	v_cmp_ne_u32_e64 s5, v6, v10
	v_and_b32_e32 v19, -4, v9
	v_cmp_ne_u32_e64 s6, 0, v17
	v_mov_b32_e32 v21, 0x4018
	v_mov_b32_e32 v23, 0x4038
	v_mov_b32_e32 v24, 0x4048
	v_mov_b32_e32 v25, 0x4058
	v_mov_b32_e32 v26, 0x4068
	v_mov_b32_e32 v27, 0x4078
	v_mov_b32_e32 v28, 0x4088
	v_mov_b32_e32 v29, 0x4098
	v_mov_b32_e32 v30, 0x40a8
	v_mov_b32_e32 v31, 0x40b8
	v_mov_b32_e32 v32, 0x40c8
	v_mov_b32_e32 v33, 0x40d8
	v_mov_b32_e32 v34, 0x40e8
	s_cmp_gt_i32 s12, 1
	s_mul_i32 s14, s18, s19
	s_cselect_b32 s7, -1, 0
	s_lshl_b32 s20, s19, 6
	s_branch .LBB14_6
.LBB14_5:                               ;   in Loop: Header=BB14_6 Depth=1
	s_or_b32 exec_lo, exec_lo, s15
	s_add_co_i32 s18, s18, 64
	s_add_co_i32 s14, s14, s20
	s_cmp_ge_i32 s18, s13
	s_cbranch_scc1 .LBB14_37
.LBB14_6:                               ; =>This Loop Header: Depth=1
                                        ;     Child Loop BB14_8 Depth 2
                                        ;     Child Loop BB14_26 Depth 2
	;; [unrolled: 1-line block ×4, first 2 shown]
	v_mov_b64_e32 v[6:7], 0
	s_ashr_i32 s15, s14, 31
	s_delay_alu instid0(SALU_CYCLE_1)
	s_lshl_b64 s[16:17], s[14:15], 3
	s_and_saveexec_b32 s15, s2
	s_cbranch_execz .LBB14_10
; %bb.7:                                ;   in Loop: Header=BB14_6 Depth=1
	v_dual_mov_b32 v6, 0 :: v_dual_mov_b32 v10, v2
	v_add_nc_u64_e32 v[8:9], s[16:17], v[4:5]
	v_mov_b32_e32 v11, v0
	s_mov_b32 s21, 0
	s_delay_alu instid0(VALU_DEP_3)
	v_mov_b32_e32 v7, v6
.LBB14_8:                               ;   Parent Loop BB14_6 Depth=1
                                        ; =>  This Inner Loop Header: Depth=2
	flat_load_b64 v[12:13], v[8:9]
	ds_load_b64 v[36:37], v10
	s_wait_xcnt 0x0
	v_add_nc_u64_e32 v[8:9], 0x2000, v[8:9]
	v_add_nc_u32_e32 v11, 0x400, v11
	v_add_nc_u32_e32 v10, 0x2000, v10
	s_delay_alu instid0(VALU_DEP_2)
	v_cmp_le_i32_e32 vcc_lo, s12, v11
	s_or_b32 s21, vcc_lo, s21
	s_wait_dscnt 0x0
	v_mov_b32_e32 v40, v37
	s_wait_loadcnt 0x0
	v_pk_mul_f32 v[38:39], v[12:13], v[36:37] op_sel_hi:[1,0]
	s_delay_alu instid0(VALU_DEP_1) | instskip(NEXT) | instid1(VALU_DEP_3)
	v_pk_fma_f32 v[36:37], v[12:13], v[36:37], v[38:39] op_sel:[1,1,0] op_sel_hi:[0,1,1] neg_lo:[0,0,1] neg_hi:[0,0,1]
	v_pk_fma_f32 v[12:13], v[12:13], v[40:41], v[38:39] op_sel:[1,0,0] op_sel_hi:[0,1,1]
	s_delay_alu instid0(VALU_DEP_2) | instskip(NEXT) | instid1(VALU_DEP_1)
	v_mov_b32_e32 v13, v37
	v_pk_add_f32 v[6:7], v[6:7], v[12:13]
	s_and_not1_b32 exec_lo, exec_lo, s21
	s_cbranch_execnz .LBB14_8
; %bb.9:                                ;   in Loop: Header=BB14_6 Depth=1
	s_or_b32 exec_lo, exec_lo, s21
.LBB14_10:                              ;   in Loop: Header=BB14_6 Depth=1
	s_delay_alu instid0(SALU_CYCLE_1) | instskip(NEXT) | instid1(SALU_CYCLE_1)
	s_or_b32 exec_lo, exec_lo, s15
	s_and_b32 vcc_lo, exec_lo, s7
	s_cbranch_vccz .LBB14_17
; %bb.11:                               ;   in Loop: Header=BB14_6 Depth=1
	v_cmp_ne_u32_e32 vcc_lo, 31, v14
	v_add_co_ci_u32_e64 v8, null, 0, v14, vcc_lo
	v_cmp_gt_u32_e32 vcc_lo, 30, v14
	s_delay_alu instid0(VALU_DEP_2)
	v_lshlrev_b32_e32 v9, 2, v8
	v_cndmask_b32_e64 v10, 0, 2, vcc_lo
	v_cmp_gt_u32_e32 vcc_lo, 28, v14
	ds_bpermute_b32 v8, v9, v6
	ds_bpermute_b32 v9, v9, v7
	v_add_lshl_u32 v11, v10, v14, 2
	v_cndmask_b32_e64 v12, 0, 4, vcc_lo
	v_cmp_gt_u32_e32 vcc_lo, 24, v14
	s_delay_alu instid0(VALU_DEP_2)
	v_add_lshl_u32 v12, v12, v14, 2
	s_wait_dscnt 0x0
	v_pk_add_f32 v[8:9], v[6:7], v[8:9]
	ds_bpermute_b32 v10, v11, v8
	ds_bpermute_b32 v11, v11, v9
	s_wait_dscnt 0x0
	v_pk_add_f32 v[8:9], v[8:9], v[10:11]
	ds_bpermute_b32 v10, v12, v8
	ds_bpermute_b32 v11, v12, v9
	v_cndmask_b32_e64 v12, 0, 8, vcc_lo
	s_delay_alu instid0(VALU_DEP_1)
	v_add_lshl_u32 v12, v12, v14, 2
	s_wait_dscnt 0x0
	v_pk_add_f32 v[8:9], v[8:9], v[10:11]
	ds_bpermute_b32 v10, v12, v8
	ds_bpermute_b32 v11, v12, v9
	s_wait_dscnt 0x0
	v_pk_add_f32 v[8:9], v[8:9], v[10:11]
	ds_bpermute_b32 v10, v15, v8
	ds_bpermute_b32 v11, v15, v9
	s_wait_dscnt 0x0
	v_pk_add_f32 v[8:9], v[8:9], v[10:11]
	s_and_saveexec_b32 s15, s1
; %bb.12:                               ;   in Loop: Header=BB14_6 Depth=1
	ds_store_2addr_b32 v16, v8, v9 offset1:1
; %bb.13:                               ;   in Loop: Header=BB14_6 Depth=1
	s_or_b32 exec_lo, exec_lo, s15
	s_mov_b32 s21, 0
	s_mov_b32 s15, 0
	s_wait_dscnt 0x0
	s_barrier_signal -1
	s_barrier_wait -1
                                        ; implicit-def: $vgpr10_vgpr11
	s_and_saveexec_b32 s22, s0
	s_delay_alu instid0(SALU_CYCLE_1)
	s_xor_b32 s22, exec_lo, s22
	s_cbranch_execz .LBB14_15
; %bb.14:                               ;   in Loop: Header=BB14_6 Depth=1
	ds_load_2addr_b64 v[10:13], v20 offset1:1
	ds_load_2addr_b64 v[36:39], v21 offset1:1
	;; [unrolled: 1-line block ×3, first 2 shown]
	s_mov_b32 s15, exec_lo
	s_wait_dscnt 0x2
	v_pk_add_f32 v[8:9], v[8:9], v[10:11]
	s_delay_alu instid0(VALU_DEP_1) | instskip(SKIP_3) | instid1(VALU_DEP_1)
	v_pk_add_f32 v[12:13], v[8:9], v[12:13]
	ds_load_2addr_b64 v[8:11], v23 offset1:1
	s_wait_dscnt 0x2
	v_pk_add_f32 v[12:13], v[12:13], v[36:37]
	v_pk_add_f32 v[12:13], v[12:13], v[38:39]
	ds_load_2addr_b64 v[36:39], v24 offset1:1
	s_wait_dscnt 0x2
	v_pk_add_f32 v[12:13], v[12:13], v[40:41]
	s_delay_alu instid0(VALU_DEP_1) | instskip(SKIP_3) | instid1(VALU_DEP_1)
	v_pk_add_f32 v[12:13], v[12:13], v[42:43]
	ds_load_2addr_b64 v[40:43], v25 offset1:1
	s_wait_dscnt 0x2
	v_pk_add_f32 v[8:9], v[12:13], v[8:9]
	v_pk_add_f32 v[12:13], v[8:9], v[10:11]
	ds_load_2addr_b64 v[8:11], v26 offset1:1
	;; [unrolled: 9-line block ×6, first 2 shown]
	s_wait_dscnt 0x2
	v_pk_add_f32 v[8:9], v[12:13], v[8:9]
	s_delay_alu instid0(VALU_DEP_1) | instskip(SKIP_3) | instid1(VALU_DEP_1)
	v_pk_add_f32 v[8:9], v[8:9], v[10:11]
	ds_load_b64 v[10:11], v3 offset:16632
	s_wait_dscnt 0x2
	v_pk_add_f32 v[8:9], v[8:9], v[36:37]
	v_pk_add_f32 v[8:9], v[8:9], v[38:39]
	s_wait_dscnt 0x1
	s_delay_alu instid0(VALU_DEP_1) | instskip(NEXT) | instid1(VALU_DEP_1)
	v_pk_add_f32 v[8:9], v[8:9], v[40:41]
	v_pk_add_f32 v[8:9], v[8:9], v[42:43]
	s_wait_dscnt 0x0
	s_delay_alu instid0(VALU_DEP_1)
	v_pk_add_f32 v[10:11], v[8:9], v[10:11]
.LBB14_15:                              ;   in Loop: Header=BB14_6 Depth=1
	s_or_b32 exec_lo, exec_lo, s22
	s_delay_alu instid0(SALU_CYCLE_1)
	s_and_b32 vcc_lo, exec_lo, s21
	s_cbranch_vccnz .LBB14_18
.LBB14_16:                              ;   in Loop: Header=BB14_6 Depth=1
	s_delay_alu instid0(VALU_DEP_1)
	v_mov_b64_e32 v[6:7], v[10:11]
	s_and_saveexec_b32 s21, s15
	s_cbranch_execnz .LBB14_19
	s_branch .LBB14_20
.LBB14_17:                              ;   in Loop: Header=BB14_6 Depth=1
	s_mov_b32 s15, 0
                                        ; implicit-def: $vgpr10_vgpr11
	s_cbranch_execz .LBB14_16
.LBB14_18:                              ;   in Loop: Header=BB14_6 Depth=1
	s_and_not1_b32 s15, s15, exec_lo
	s_and_b32 s21, s0, exec_lo
	s_delay_alu instid0(SALU_CYCLE_1) | instskip(NEXT) | instid1(SALU_CYCLE_1)
	s_or_b32 s15, s15, s21
	s_and_saveexec_b32 s21, s15
.LBB14_19:                              ;   in Loop: Header=BB14_6 Depth=1
	ds_store_b64 v3, v[6:7] offset:16384
.LBB14_20:                              ;   in Loop: Header=BB14_6 Depth=1
	s_or_b32 exec_lo, exec_lo, s21
	s_wait_dscnt 0x0
	s_barrier_signal -1
	s_barrier_wait -1
	s_and_saveexec_b32 s15, s2
	s_cbranch_execz .LBB14_5
; %bb.21:                               ;   in Loop: Header=BB14_6 Depth=1
	global_load_b64 v[10:11], v3, s[10:11]
	ds_load_b64 v[12:13], v3 offset:16384
	s_mov_b32 s22, 0
                                        ; implicit-def: $vgpr35
	s_wait_loadcnt_dscnt 0x0
	v_dual_mul_f32 v6, v11, v13 :: v_dual_mul_f32 v7, v11, v12
	v_xor_b32_e32 v9, 0x80000000, v10
	s_delay_alu instid0(VALU_DEP_2) | instskip(NEXT) | instid1(VALU_DEP_3)
	v_xor_b32_e32 v6, 0x80000000, v6
	v_xor_b32_e32 v8, 0x80000000, v7
	s_delay_alu instid0(VALU_DEP_2) | instskip(NEXT) | instid1(VALU_DEP_2)
	v_fmac_f32_e32 v6, v12, v9
	v_fmac_f32_e32 v8, v10, v13
	s_wait_xcnt 0x0
	s_and_saveexec_b32 s21, s3
	s_delay_alu instid0(SALU_CYCLE_1)
	s_xor_b32 s21, exec_lo, s21
	s_cbranch_execnz .LBB14_24
; %bb.22:                               ;   in Loop: Header=BB14_6 Depth=1
	s_or_saveexec_b32 s21, s21
	v_mov_b32_e32 v10, v18
	s_xor_b32 exec_lo, exec_lo, s21
	s_cbranch_execnz .LBB14_34
.LBB14_23:                              ;   in Loop: Header=BB14_6 Depth=1
	s_or_b32 exec_lo, exec_lo, s21
	s_delay_alu instid0(SALU_CYCLE_1)
	s_and_b32 exec_lo, exec_lo, s22
	s_cbranch_execz .LBB14_5
	s_branch .LBB14_35
.LBB14_24:                              ;   in Loop: Header=BB14_6 Depth=1
	v_mov_b64_e32 v[10:11], v[0:1]
	v_dual_mov_b32 v7, v6 :: v_dual_mov_b32 v9, v8
	v_mov_b32_e32 v35, 0
	s_mul_i32 s22, s18, s19
	s_and_saveexec_b32 s23, s4
	s_cbranch_execz .LBB14_28
; %bb.25:                               ;   in Loop: Header=BB14_6 Depth=1
	v_mov_b64_e32 v[10:11], v[0:1]
	v_dual_mov_b32 v12, v19 :: v_dual_mov_b32 v13, v2
	s_add_co_i32 s24, s22, 0x800
	s_add_co_i32 s25, s22, 0x1000
	;; [unrolled: 1-line block ×3, first 2 shown]
	s_mov_b32 s26, s24
	s_mov_b32 s27, s25
	;; [unrolled: 1-line block ×5, first 2 shown]
.LBB14_26:                              ;   Parent Loop BB14_6 Depth=1
                                        ; =>  This Inner Loop Header: Depth=2
	v_dual_add_nc_u32 v35, s22, v10 :: v_dual_add_nc_u32 v46, s22, v11
	v_dual_add_nc_u32 v47, s26, v11 :: v_dual_add_nc_u32 v48, s24, v10
	s_add_co_i32 s31, s31, 8
	s_clause 0x1
	flat_load_b64 v[40:41], v35, s[8:9] scale_offset
	flat_load_b64 v[42:43], v46, s[8:9] scale_offset
	ds_load_2addr_stride64_b64 v[36:39], v13 offset1:16
	s_wait_dscnt 0x0
	v_dual_mov_b32 v45, v38 :: v_dual_mov_b32 v38, v37
	v_mov_b32_e32 v44, v36
	s_delay_alu instid0(VALU_DEP_2) | instskip(SKIP_1) | instid1(VALU_DEP_2)
	v_pk_mul_f32 v[36:37], v[8:9], v[38:39]
	v_pk_mul_f32 v[38:39], v[6:7], v[38:39]
	v_pk_fma_f32 v[36:37], v[6:7], v[44:45], v[36:37] neg_lo:[0,0,1] neg_hi:[0,0,1]
	s_delay_alu instid0(VALU_DEP_2) | instskip(SKIP_3) | instid1(VALU_DEP_2)
	v_pk_fma_f32 v[38:39], v[8:9], v[44:45], v[38:39]
	s_wait_loadcnt 0x0
	v_dual_mov_b32 v44, v40 :: v_dual_mov_b32 v45, v42
	v_mov_b32_e32 v42, v41
	v_pk_add_f32 v[36:37], v[44:45], v[36:37]
	s_delay_alu instid0(VALU_DEP_2) | instskip(NEXT) | instid1(VALU_DEP_1)
	v_pk_add_f32 v[38:39], v[38:39], v[42:43]
	v_dual_mov_b32 v40, v36 :: v_dual_mov_b32 v41, v38
	s_delay_alu instid0(VALU_DEP_3)
	v_mov_b32_e32 v38, v37
	s_clause 0x3
	flat_store_b64 v35, v[40:41], s[8:9] scale_offset
	flat_store_b64 v46, v[38:39], s[8:9] scale_offset
	flat_load_b64 v[40:41], v48, s[8:9] scale_offset
	flat_load_b64 v[42:43], v47, s[8:9] scale_offset
	s_wait_xcnt 0x2
	ds_load_2addr_stride64_b64 v[36:39], v13 offset0:32 offset1:48
	v_dual_add_nc_u32 v46, s25, v10 :: v_dual_add_nc_u32 v35, s27, v11
	s_wait_dscnt 0x0
	v_dual_mov_b32 v45, v38 :: v_dual_mov_b32 v38, v37
	v_mov_b32_e32 v44, v36
	s_delay_alu instid0(VALU_DEP_2) | instskip(SKIP_1) | instid1(VALU_DEP_2)
	v_pk_mul_f32 v[36:37], v[8:9], v[38:39]
	v_pk_mul_f32 v[38:39], v[6:7], v[38:39]
	v_pk_fma_f32 v[36:37], v[6:7], v[44:45], v[36:37] neg_lo:[0,0,1] neg_hi:[0,0,1]
	s_delay_alu instid0(VALU_DEP_2) | instskip(SKIP_2) | instid1(VALU_DEP_1)
	v_pk_fma_f32 v[38:39], v[8:9], v[44:45], v[38:39]
	s_wait_loadcnt 0x0
	v_dual_mov_b32 v44, v40 :: v_dual_mov_b32 v45, v42
	v_pk_add_f32 v[36:37], v[44:45], v[36:37]
	s_delay_alu instid0(VALU_DEP_1) | instskip(NEXT) | instid1(VALU_DEP_1)
	v_dual_mov_b32 v42, v41 :: v_dual_mov_b32 v40, v36
	v_pk_add_f32 v[38:39], v[38:39], v[42:43]
	s_delay_alu instid0(VALU_DEP_1)
	v_dual_mov_b32 v41, v38 :: v_dual_mov_b32 v38, v37
	s_clause 0x3
	flat_store_b64 v48, v[40:41], s[8:9] scale_offset
	flat_store_b64 v47, v[38:39], s[8:9] scale_offset
	flat_load_b64 v[40:41], v46, s[8:9] scale_offset
	flat_load_b64 v[42:43], v35, s[8:9] scale_offset
	s_wait_xcnt 0x2
	ds_load_2addr_stride64_b64 v[36:39], v13 offset0:64 offset1:80
	v_dual_add_nc_u32 v47, s30, v11 :: v_dual_add_nc_u32 v48, s28, v10
	v_add_nc_u32_e32 v10, 0x2000, v10
	v_add_nc_u32_e32 v11, 0x2000, v11
	s_wait_dscnt 0x0
	v_dual_mov_b32 v45, v38 :: v_dual_mov_b32 v38, v37
	v_mov_b32_e32 v44, v36
	s_delay_alu instid0(VALU_DEP_2) | instskip(SKIP_1) | instid1(VALU_DEP_2)
	v_pk_mul_f32 v[36:37], v[8:9], v[38:39]
	v_pk_mul_f32 v[38:39], v[6:7], v[38:39]
	v_pk_fma_f32 v[36:37], v[6:7], v[44:45], v[36:37] neg_lo:[0,0,1] neg_hi:[0,0,1]
	s_delay_alu instid0(VALU_DEP_2) | instskip(SKIP_3) | instid1(VALU_DEP_2)
	v_pk_fma_f32 v[38:39], v[8:9], v[44:45], v[38:39]
	s_wait_loadcnt 0x0
	v_dual_mov_b32 v44, v40 :: v_dual_mov_b32 v45, v42
	v_mov_b32_e32 v42, v41
	v_pk_add_f32 v[36:37], v[44:45], v[36:37]
	s_delay_alu instid0(VALU_DEP_2) | instskip(NEXT) | instid1(VALU_DEP_1)
	v_pk_add_f32 v[38:39], v[38:39], v[42:43]
	v_dual_mov_b32 v40, v36 :: v_dual_mov_b32 v41, v38
	s_delay_alu instid0(VALU_DEP_3)
	v_mov_b32_e32 v38, v37
	s_clause 0x3
	flat_store_b64 v46, v[40:41], s[8:9] scale_offset
	flat_store_b64 v35, v[38:39], s[8:9] scale_offset
	flat_load_b64 v[40:41], v48, s[8:9] scale_offset
	flat_load_b64 v[42:43], v47, s[8:9] scale_offset
	s_wait_xcnt 0x2
	ds_load_2addr_stride64_b64 v[36:39], v13 offset0:96 offset1:112
	v_mov_b32_e32 v35, s31
	v_add_nc_u32_e32 v13, 0x10000, v13
	s_wait_dscnt 0x0
	v_dual_mov_b32 v45, v38 :: v_dual_mov_b32 v38, v37
	v_mov_b32_e32 v44, v36
	s_delay_alu instid0(VALU_DEP_2) | instskip(SKIP_1) | instid1(VALU_DEP_2)
	v_pk_mul_f32 v[36:37], v[8:9], v[38:39]
	v_pk_mul_f32 v[38:39], v[6:7], v[38:39]
	v_pk_fma_f32 v[36:37], v[6:7], v[44:45], v[36:37] neg_lo:[0,0,1] neg_hi:[0,0,1]
	s_delay_alu instid0(VALU_DEP_2) | instskip(SKIP_3) | instid1(VALU_DEP_2)
	v_pk_fma_f32 v[38:39], v[8:9], v[44:45], v[38:39]
	s_wait_loadcnt 0x0
	v_dual_mov_b32 v44, v40 :: v_dual_mov_b32 v45, v42
	v_mov_b32_e32 v42, v41
	v_pk_add_f32 v[36:37], v[44:45], v[36:37]
	v_add_nc_u32_e32 v12, -4, v12
	s_delay_alu instid0(VALU_DEP_3) | instskip(NEXT) | instid1(VALU_DEP_3)
	v_pk_add_f32 v[38:39], v[38:39], v[42:43]
	v_mov_b32_e32 v40, v36
	s_delay_alu instid0(VALU_DEP_3) | instskip(NEXT) | instid1(VALU_DEP_3)
	v_cmp_eq_u32_e32 vcc_lo, 0, v12
	v_dual_mov_b32 v41, v38 :: v_dual_mov_b32 v38, v37
	s_clause 0x1
	flat_store_b64 v48, v[40:41], s[8:9] scale_offset
	flat_store_b64 v47, v[38:39], s[8:9] scale_offset
	s_or_b32 s29, vcc_lo, s29
	s_wait_xcnt 0x0
	s_and_not1_b32 exec_lo, exec_lo, s29
	s_cbranch_execnz .LBB14_26
; %bb.27:                               ;   in Loop: Header=BB14_6 Depth=1
	s_or_b32 exec_lo, exec_lo, s29
.LBB14_28:                              ;   in Loop: Header=BB14_6 Depth=1
	s_delay_alu instid0(SALU_CYCLE_1)
	s_or_b32 exec_lo, exec_lo, s23
	s_and_saveexec_b32 s23, s6
	s_cbranch_execz .LBB14_31
; %bb.29:                               ;   in Loop: Header=BB14_6 Depth=1
	v_lshl_or_b32 v12, v35, 13, v2
	v_mov_b32_e32 v13, v17
	s_mov_b32 s24, 0
.LBB14_30:                              ;   Parent Loop BB14_6 Depth=1
                                        ; =>  This Inner Loop Header: Depth=2
	v_dual_add_nc_u32 v35, s22, v10 :: v_dual_add_nc_u32 v46, s22, v11
	v_add_nc_u32_e32 v10, 0x800, v10
	s_clause 0x1
	flat_load_b64 v[40:41], v35, s[8:9] scale_offset
	flat_load_b64 v[42:43], v46, s[8:9] scale_offset
	ds_load_2addr_stride64_b64 v[36:39], v12 offset1:16
	s_wait_dscnt 0x0
	v_dual_mov_b32 v45, v38 :: v_dual_add_nc_u32 v12, 0x4000, v12
	v_dual_mov_b32 v38, v37 :: v_dual_mov_b32 v44, v36
	s_delay_alu instid0(VALU_DEP_1) | instskip(SKIP_1) | instid1(VALU_DEP_2)
	v_pk_mul_f32 v[36:37], v[8:9], v[38:39]
	v_pk_mul_f32 v[38:39], v[6:7], v[38:39]
	v_pk_fma_f32 v[36:37], v[6:7], v[44:45], v[36:37] neg_lo:[0,0,1] neg_hi:[0,0,1]
	s_delay_alu instid0(VALU_DEP_2) | instskip(SKIP_3) | instid1(VALU_DEP_2)
	v_pk_fma_f32 v[38:39], v[8:9], v[44:45], v[38:39]
	s_wait_loadcnt 0x0
	v_dual_mov_b32 v44, v40 :: v_dual_mov_b32 v45, v42
	v_mov_b32_e32 v42, v41
	v_pk_add_f32 v[36:37], v[44:45], v[36:37]
	s_delay_alu instid0(VALU_DEP_2) | instskip(SKIP_1) | instid1(VALU_DEP_3)
	v_pk_add_f32 v[38:39], v[38:39], v[42:43]
	v_add_nc_u32_e32 v13, -1, v13
	v_dual_mov_b32 v40, v36 :: v_dual_add_nc_u32 v11, 0x800, v11
	s_delay_alu instid0(VALU_DEP_3) | instskip(NEXT) | instid1(VALU_DEP_3)
	v_mov_b32_e32 v41, v38
	v_cmp_eq_u32_e32 vcc_lo, 0, v13
	v_mov_b32_e32 v38, v37
	s_clause 0x1
	flat_store_b64 v35, v[40:41], s[8:9] scale_offset
	flat_store_b64 v46, v[38:39], s[8:9] scale_offset
	s_or_b32 s24, vcc_lo, s24
	s_wait_xcnt 0x0
	s_and_not1_b32 exec_lo, exec_lo, s24
	s_cbranch_execnz .LBB14_30
.LBB14_31:                              ;   in Loop: Header=BB14_6 Depth=1
	s_or_b32 exec_lo, exec_lo, s23
	s_mov_b32 s22, 0
                                        ; implicit-def: $vgpr35
	s_and_saveexec_b32 s23, s5
	s_delay_alu instid0(SALU_CYCLE_1)
	s_xor_b32 s23, exec_lo, s23
; %bb.32:                               ;   in Loop: Header=BB14_6 Depth=1
	v_lshlrev_b32_e32 v35, 3, v18
	s_mov_b32 s22, exec_lo
; %bb.33:                               ;   in Loop: Header=BB14_6 Depth=1
	s_or_b32 exec_lo, exec_lo, s23
	s_delay_alu instid0(SALU_CYCLE_1)
	s_and_b32 s22, s22, exec_lo
	s_or_saveexec_b32 s21, s21
	v_mov_b32_e32 v10, v18
	s_xor_b32 exec_lo, exec_lo, s21
	s_cbranch_execz .LBB14_23
.LBB14_34:                              ;   in Loop: Header=BB14_6 Depth=1
	v_dual_mov_b32 v10, v0 :: v_dual_mov_b32 v35, v2
	s_or_b32 s22, s22, exec_lo
	s_or_b32 exec_lo, exec_lo, s21
	s_delay_alu instid0(SALU_CYCLE_1)
	s_and_b32 exec_lo, exec_lo, s22
	s_cbranch_execz .LBB14_5
.LBB14_35:                              ;   in Loop: Header=BB14_6 Depth=1
	v_dual_ashrrev_i32 v11, 31, v10 :: v_dual_mov_b32 v9, v8
	s_add_nc_u64 s[16:17], s[8:9], s[16:17]
	v_mov_b32_e32 v7, v6
	s_delay_alu instid0(VALU_DEP_2)
	v_lshl_add_u64 v[12:13], v[10:11], 3, s[16:17]
	s_mov_b32 s16, 0
.LBB14_36:                              ;   Parent Loop BB14_6 Depth=1
                                        ; =>  This Inner Loop Header: Depth=2
	flat_load_b64 v[36:37], v[12:13]
	ds_load_b64 v[38:39], v35
	v_add_nc_u32_e32 v35, 0x2000, v35
	v_add_nc_u32_e32 v10, 0x400, v10
	s_delay_alu instid0(VALU_DEP_1) | instskip(SKIP_3) | instid1(VALU_DEP_1)
	v_cmp_le_i32_e32 vcc_lo, s12, v10
	s_or_b32 s16, vcc_lo, s16
	s_wait_dscnt 0x0
	v_pk_mul_f32 v[40:41], v[8:9], v[38:39] op_sel:[0,1] op_sel_hi:[1,0]
	v_pk_fma_f32 v[42:43], v[6:7], v[38:39], v[40:41]
	v_pk_fma_f32 v[38:39], v[6:7], v[38:39], v[40:41] neg_lo:[0,0,1] neg_hi:[0,0,1]
	s_delay_alu instid0(VALU_DEP_2) | instskip(SKIP_1) | instid1(VALU_DEP_1)
	v_mov_b32_e32 v39, v43
	s_wait_loadcnt 0x0
	v_pk_add_f32 v[36:37], v[36:37], v[38:39]
	flat_store_b64 v[12:13], v[36:37]
	s_wait_xcnt 0x0
	v_add_nc_u64_e32 v[12:13], 0x2000, v[12:13]
	s_and_not1_b32 exec_lo, exec_lo, s16
	s_cbranch_execnz .LBB14_36
	s_branch .LBB14_5
.LBB14_37:
	s_endpgm
	.section	.rodata,"a",@progbits
	.p2align	6, 0x0
	.amdhsa_kernel _ZN9rocsolver6v33100L22larf_left_kernel_smallILi1024E19rocblas_complex_numIfEiPKPS3_EEvT1_S7_T2_lS7_lPKT0_lS8_lS7_l
		.amdhsa_group_segment_fixed_size 24576
		.amdhsa_private_segment_fixed_size 0
		.amdhsa_kernarg_size 88
		.amdhsa_user_sgpr_count 2
		.amdhsa_user_sgpr_dispatch_ptr 0
		.amdhsa_user_sgpr_queue_ptr 0
		.amdhsa_user_sgpr_kernarg_segment_ptr 1
		.amdhsa_user_sgpr_dispatch_id 0
		.amdhsa_user_sgpr_kernarg_preload_length 0
		.amdhsa_user_sgpr_kernarg_preload_offset 0
		.amdhsa_user_sgpr_private_segment_size 0
		.amdhsa_wavefront_size32 1
		.amdhsa_uses_dynamic_stack 0
		.amdhsa_enable_private_segment 0
		.amdhsa_system_sgpr_workgroup_id_x 1
		.amdhsa_system_sgpr_workgroup_id_y 1
		.amdhsa_system_sgpr_workgroup_id_z 0
		.amdhsa_system_sgpr_workgroup_info 0
		.amdhsa_system_vgpr_workitem_id 0
		.amdhsa_next_free_vgpr 49
		.amdhsa_next_free_sgpr 32
		.amdhsa_named_barrier_count 0
		.amdhsa_reserve_vcc 1
		.amdhsa_float_round_mode_32 0
		.amdhsa_float_round_mode_16_64 0
		.amdhsa_float_denorm_mode_32 3
		.amdhsa_float_denorm_mode_16_64 3
		.amdhsa_fp16_overflow 0
		.amdhsa_memory_ordered 1
		.amdhsa_forward_progress 1
		.amdhsa_inst_pref_size 26
		.amdhsa_round_robin_scheduling 0
		.amdhsa_exception_fp_ieee_invalid_op 0
		.amdhsa_exception_fp_denorm_src 0
		.amdhsa_exception_fp_ieee_div_zero 0
		.amdhsa_exception_fp_ieee_overflow 0
		.amdhsa_exception_fp_ieee_underflow 0
		.amdhsa_exception_fp_ieee_inexact 0
		.amdhsa_exception_int_div_zero 0
	.end_amdhsa_kernel
	.section	.text._ZN9rocsolver6v33100L22larf_left_kernel_smallILi1024E19rocblas_complex_numIfEiPKPS3_EEvT1_S7_T2_lS7_lPKT0_lS8_lS7_l,"axG",@progbits,_ZN9rocsolver6v33100L22larf_left_kernel_smallILi1024E19rocblas_complex_numIfEiPKPS3_EEvT1_S7_T2_lS7_lPKT0_lS8_lS7_l,comdat
.Lfunc_end14:
	.size	_ZN9rocsolver6v33100L22larf_left_kernel_smallILi1024E19rocblas_complex_numIfEiPKPS3_EEvT1_S7_T2_lS7_lPKT0_lS8_lS7_l, .Lfunc_end14-_ZN9rocsolver6v33100L22larf_left_kernel_smallILi1024E19rocblas_complex_numIfEiPKPS3_EEvT1_S7_T2_lS7_lPKT0_lS8_lS7_l
                                        ; -- End function
	.set _ZN9rocsolver6v33100L22larf_left_kernel_smallILi1024E19rocblas_complex_numIfEiPKPS3_EEvT1_S7_T2_lS7_lPKT0_lS8_lS7_l.num_vgpr, 49
	.set _ZN9rocsolver6v33100L22larf_left_kernel_smallILi1024E19rocblas_complex_numIfEiPKPS3_EEvT1_S7_T2_lS7_lPKT0_lS8_lS7_l.num_agpr, 0
	.set _ZN9rocsolver6v33100L22larf_left_kernel_smallILi1024E19rocblas_complex_numIfEiPKPS3_EEvT1_S7_T2_lS7_lPKT0_lS8_lS7_l.numbered_sgpr, 32
	.set _ZN9rocsolver6v33100L22larf_left_kernel_smallILi1024E19rocblas_complex_numIfEiPKPS3_EEvT1_S7_T2_lS7_lPKT0_lS8_lS7_l.num_named_barrier, 0
	.set _ZN9rocsolver6v33100L22larf_left_kernel_smallILi1024E19rocblas_complex_numIfEiPKPS3_EEvT1_S7_T2_lS7_lPKT0_lS8_lS7_l.private_seg_size, 0
	.set _ZN9rocsolver6v33100L22larf_left_kernel_smallILi1024E19rocblas_complex_numIfEiPKPS3_EEvT1_S7_T2_lS7_lPKT0_lS8_lS7_l.uses_vcc, 1
	.set _ZN9rocsolver6v33100L22larf_left_kernel_smallILi1024E19rocblas_complex_numIfEiPKPS3_EEvT1_S7_T2_lS7_lPKT0_lS8_lS7_l.uses_flat_scratch, 1
	.set _ZN9rocsolver6v33100L22larf_left_kernel_smallILi1024E19rocblas_complex_numIfEiPKPS3_EEvT1_S7_T2_lS7_lPKT0_lS8_lS7_l.has_dyn_sized_stack, 0
	.set _ZN9rocsolver6v33100L22larf_left_kernel_smallILi1024E19rocblas_complex_numIfEiPKPS3_EEvT1_S7_T2_lS7_lPKT0_lS8_lS7_l.has_recursion, 0
	.set _ZN9rocsolver6v33100L22larf_left_kernel_smallILi1024E19rocblas_complex_numIfEiPKPS3_EEvT1_S7_T2_lS7_lPKT0_lS8_lS7_l.has_indirect_call, 0
	.section	.AMDGPU.csdata,"",@progbits
; Kernel info:
; codeLenInByte = 3288
; TotalNumSgprs: 34
; NumVgprs: 49
; ScratchSize: 0
; MemoryBound: 0
; FloatMode: 240
; IeeeMode: 1
; LDSByteSize: 24576 bytes/workgroup (compile time only)
; SGPRBlocks: 0
; VGPRBlocks: 3
; NumSGPRsForWavesPerEU: 34
; NumVGPRsForWavesPerEU: 49
; NamedBarCnt: 0
; Occupancy: 16
; WaveLimiterHint : 1
; COMPUTE_PGM_RSRC2:SCRATCH_EN: 0
; COMPUTE_PGM_RSRC2:USER_SGPR: 2
; COMPUTE_PGM_RSRC2:TRAP_HANDLER: 0
; COMPUTE_PGM_RSRC2:TGID_X_EN: 1
; COMPUTE_PGM_RSRC2:TGID_Y_EN: 1
; COMPUTE_PGM_RSRC2:TGID_Z_EN: 0
; COMPUTE_PGM_RSRC2:TIDIG_COMP_CNT: 0
	.section	.text._ZN9rocsolver6v33100L23larf_right_kernel_smallILi64E19rocblas_complex_numIfEiPKPS3_EEvT1_S7_T2_lS7_lPKT0_lS8_lS7_l,"axG",@progbits,_ZN9rocsolver6v33100L23larf_right_kernel_smallILi64E19rocblas_complex_numIfEiPKPS3_EEvT1_S7_T2_lS7_lPKT0_lS8_lS7_l,comdat
	.globl	_ZN9rocsolver6v33100L23larf_right_kernel_smallILi64E19rocblas_complex_numIfEiPKPS3_EEvT1_S7_T2_lS7_lPKT0_lS8_lS7_l ; -- Begin function _ZN9rocsolver6v33100L23larf_right_kernel_smallILi64E19rocblas_complex_numIfEiPKPS3_EEvT1_S7_T2_lS7_lPKT0_lS8_lS7_l
	.p2align	8
	.type	_ZN9rocsolver6v33100L23larf_right_kernel_smallILi64E19rocblas_complex_numIfEiPKPS3_EEvT1_S7_T2_lS7_lPKT0_lS8_lS7_l,@function
_ZN9rocsolver6v33100L23larf_right_kernel_smallILi64E19rocblas_complex_numIfEiPKPS3_EEvT1_S7_T2_lS7_lPKT0_lS8_lS7_l: ; @_ZN9rocsolver6v33100L23larf_right_kernel_smallILi64E19rocblas_complex_numIfEiPKPS3_EEvT1_S7_T2_lS7_lPKT0_lS8_lS7_l
; %bb.0:
	s_load_b256 s[4:11], s[0:1], 0x28
	s_bfe_u32 s2, ttmp6, 0x4000c
	s_and_b32 s12, ttmp6, 15
	s_add_co_i32 s2, s2, 1
	s_getreg_b32 s3, hwreg(HW_REG_IB_STS2, 6, 4)
	s_mul_i32 s2, ttmp9, s2
	v_lshlrev_b32_e32 v1, 3, v0
	s_add_co_i32 s12, s12, s2
	s_cmp_eq_u32 s3, 0
	s_mov_b32 s21, 0
	s_cselect_b32 s14, ttmp9, s12
	s_load_b64 s[12:13], s[0:1], 0x0
	s_ashr_i32 s15, s14, 31
	s_delay_alu instid0(SALU_CYCLE_1)
	s_lshl_b64 s[18:19], s[14:15], 3
	s_wait_kmcnt 0x0
	s_add_nc_u64 s[8:9], s[8:9], s[18:19]
	s_load_b64 s[16:17], s[8:9], 0x0
	v_cmp_gt_i32_e64 s2, s13, v0
	s_and_saveexec_b32 s20, s2
	s_cbranch_execz .LBB15_3
; %bb.1:
	s_clause 0x1
	s_load_b128 s[24:27], s[0:1], 0x8
	s_load_b32 s22, s[0:1], 0x18
	s_sub_co_i32 s23, 1, s13
	v_dual_mov_b32 v4, v0 :: v_dual_lshlrev_b32 v3, 3, v0
	s_wait_kmcnt 0x0
	s_add_nc_u64 s[8:9], s[24:25], s[18:19]
	s_lshl_b64 s[18:19], s[26:27], 3
	s_load_b64 s[8:9], s[8:9], 0x0
	s_mul_i32 s23, s22, s23
	s_cmp_lt_i32 s22, 1
	s_cselect_b32 s23, s23, 0
	s_delay_alu instid0(SALU_CYCLE_1)
	v_mad_u32 v2, v0, s22, s23
	s_wait_kmcnt 0x0
	s_add_nc_u64 s[8:9], s[8:9], s[18:19]
	s_lshl_b32 s18, s22, 6
.LBB15_2:                               ; =>This Inner Loop Header: Depth=1
	flat_load_b64 v[6:7], v2, s[8:9] scale_offset
	s_wait_xcnt 0x0
	v_dual_add_nc_u32 v4, 64, v4 :: v_dual_add_nc_u32 v2, s18, v2
	s_delay_alu instid0(VALU_DEP_1)
	v_cmp_le_i32_e32 vcc_lo, s13, v4
	s_or_b32 s21, vcc_lo, s21
	s_wait_loadcnt_dscnt 0x0
	ds_store_b64 v3, v[6:7]
	v_add_nc_u32_e32 v3, 0x200, v3
	s_and_not1_b32 exec_lo, exec_lo, s21
	s_cbranch_execnz .LBB15_2
.LBB15_3:
	s_or_b32 exec_lo, exec_lo, s20
	s_wait_xcnt 0x0
	s_bfe_u32 s8, ttmp6, 0x40010
	s_bfe_u32 s9, ttmp6, 0x40004
	s_add_co_i32 s8, s8, 1
	s_wait_dscnt 0x0
	s_mul_i32 s8, ttmp7, s8
	s_barrier_signal -1
	s_add_co_i32 s9, s9, s8
	s_cmp_eq_u32 s3, 0
	s_barrier_wait -1
	s_cselect_b32 s8, ttmp7, s9
	s_delay_alu instid0(SALU_CYCLE_1)
	s_cmp_ge_i32 s8, s12
	s_cbranch_scc1 .LBB15_23
; %bb.4:
	s_load_b32 s9, s[0:1], 0x48
	v_dual_lshrrev_b32 v3, 2, v0 :: v_dual_bitop2_b32 v2, 31, v0 bitop3:0x40
	v_mbcnt_lo_u32_b32 v8, -1, 0
	s_wait_xcnt 0x0
	s_lshl_b64 s[0:1], s[10:11], 3
	s_mul_u64 s[10:11], s[6:7], s[14:15]
	s_wait_kmcnt 0x0
	s_add_nc_u64 s[6:7], s[16:17], s[0:1]
	s_lshl_b64 s[10:11], s[10:11], 3
	v_cmp_eq_u32_e64 s0, 0, v2
	v_cmp_eq_u32_e64 s1, 0, v0
	v_lshl_or_b32 v10, v8, 2, 64
	v_or_b32_e32 v11, 0x4000, v3
	v_mov_b32_e32 v12, 0
	s_cmp_gt_i32 s13, 1
	s_add_nc_u64 s[4:5], s[4:5], s[10:11]
	s_cselect_b32 s3, -1, 0
	v_mul_lo_u32 v9, v0, s9
	s_lshl_b32 s14, s9, 6
	s_branch .LBB15_6
.LBB15_5:                               ;   in Loop: Header=BB15_6 Depth=1
	s_or_b32 exec_lo, exec_lo, s9
	s_add_co_i32 s8, s8, 64
	s_delay_alu instid0(SALU_CYCLE_1)
	s_cmp_ge_i32 s8, s12
	s_cbranch_scc1 .LBB15_23
.LBB15_6:                               ; =>This Loop Header: Depth=1
                                        ;     Child Loop BB15_8 Depth 2
                                        ;     Child Loop BB15_22 Depth 2
	v_mov_b64_e32 v[2:3], 0
	s_ashr_i32 s9, s8, 31
	s_delay_alu instid0(SALU_CYCLE_1) | instskip(NEXT) | instid1(SALU_CYCLE_1)
	s_lshl_b64 s[10:11], s[8:9], 3
	s_add_nc_u64 s[10:11], s[6:7], s[10:11]
	s_and_saveexec_b32 s9, s2
	s_cbranch_execz .LBB15_10
; %bb.7:                                ;   in Loop: Header=BB15_6 Depth=1
	s_delay_alu instid0(VALU_DEP_2) | instskip(SKIP_2) | instid1(VALU_DEP_2)
	v_dual_mov_b32 v2, 0 :: v_dual_mov_b32 v4, v9
	v_dual_mov_b32 v5, v1 :: v_dual_mov_b32 v6, v0
	s_mov_b32 s15, 0
	v_mov_b32_e32 v3, v2
.LBB15_8:                               ;   Parent Loop BB15_6 Depth=1
                                        ; =>  This Inner Loop Header: Depth=2
	flat_load_b64 v[14:15], v4, s[10:11] scale_offset
	ds_load_b64 v[16:17], v5
	v_add_nc_u32_e32 v5, 0x200, v5
	s_wait_xcnt 0x0
	v_add_nc_u32_e32 v4, s14, v4
	s_wait_loadcnt_dscnt 0x0
	v_pk_mul_f32 v[18:19], v[14:15], v[16:17] op_sel:[1,1] op_sel_hi:[0,1]
	s_delay_alu instid0(VALU_DEP_1) | instskip(SKIP_2) | instid1(VALU_DEP_3)
	v_pk_fma_f32 v[20:21], v[14:15], v[16:17], v[18:19] op_sel_hi:[1,0,1]
	v_add_nc_u32_e32 v6, 64, v6
	v_pk_fma_f32 v[14:15], v[14:15], v[16:17], v[18:19] neg_lo:[0,0,1] neg_hi:[0,0,1]
	v_mov_b32_e32 v15, v21
	s_delay_alu instid0(VALU_DEP_3) | instskip(NEXT) | instid1(VALU_DEP_2)
	v_cmp_le_i32_e32 vcc_lo, s13, v6
	v_pk_add_f32 v[2:3], v[2:3], v[14:15]
	s_or_b32 s15, vcc_lo, s15
	s_delay_alu instid0(SALU_CYCLE_1)
	s_and_not1_b32 exec_lo, exec_lo, s15
	s_cbranch_execnz .LBB15_8
; %bb.9:                                ;   in Loop: Header=BB15_6 Depth=1
	s_or_b32 exec_lo, exec_lo, s15
.LBB15_10:                              ;   in Loop: Header=BB15_6 Depth=1
	s_delay_alu instid0(SALU_CYCLE_1) | instskip(NEXT) | instid1(SALU_CYCLE_1)
	s_or_b32 exec_lo, exec_lo, s9
	s_and_b32 vcc_lo, exec_lo, s3
	s_cbranch_vccz .LBB15_17
; %bb.11:                               ;   in Loop: Header=BB15_6 Depth=1
	v_cmp_ne_u32_e32 vcc_lo, 31, v8
	v_add_co_ci_u32_e64 v4, null, 0, v8, vcc_lo
	v_cmp_gt_u32_e32 vcc_lo, 30, v8
	s_delay_alu instid0(VALU_DEP_2)
	v_lshlrev_b32_e32 v5, 2, v4
	v_cndmask_b32_e64 v6, 0, 2, vcc_lo
	v_cmp_gt_u32_e32 vcc_lo, 28, v8
	ds_bpermute_b32 v4, v5, v2
	ds_bpermute_b32 v5, v5, v3
	v_add_lshl_u32 v7, v6, v8, 2
	v_cndmask_b32_e64 v13, 0, 4, vcc_lo
	v_cmp_gt_u32_e32 vcc_lo, 24, v8
	s_delay_alu instid0(VALU_DEP_2)
	v_add_lshl_u32 v13, v13, v8, 2
	s_wait_dscnt 0x0
	v_pk_add_f32 v[4:5], v[2:3], v[4:5]
	ds_bpermute_b32 v6, v7, v4
	ds_bpermute_b32 v7, v7, v5
	s_wait_dscnt 0x0
	v_pk_add_f32 v[4:5], v[4:5], v[6:7]
	ds_bpermute_b32 v6, v13, v4
	ds_bpermute_b32 v7, v13, v5
	v_cndmask_b32_e64 v13, 0, 8, vcc_lo
	s_delay_alu instid0(VALU_DEP_1)
	v_add_lshl_u32 v13, v13, v8, 2
	s_wait_dscnt 0x0
	v_pk_add_f32 v[4:5], v[4:5], v[6:7]
	ds_bpermute_b32 v6, v13, v4
	ds_bpermute_b32 v7, v13, v5
	s_wait_dscnt 0x0
	v_pk_add_f32 v[4:5], v[4:5], v[6:7]
	ds_bpermute_b32 v6, v10, v4
	ds_bpermute_b32 v7, v10, v5
	s_wait_dscnt 0x0
	v_pk_add_f32 v[6:7], v[4:5], v[6:7]
	s_and_saveexec_b32 s9, s0
; %bb.12:                               ;   in Loop: Header=BB15_6 Depth=1
	ds_store_2addr_b32 v11, v6, v7 offset1:1
; %bb.13:                               ;   in Loop: Header=BB15_6 Depth=1
	s_or_b32 exec_lo, exec_lo, s9
	s_mov_b32 s15, 0
	s_mov_b32 s9, 0
	s_wait_dscnt 0x0
	s_barrier_signal -1
	s_barrier_wait -1
                                        ; implicit-def: $vgpr4_vgpr5
	s_and_saveexec_b32 s16, s1
	s_delay_alu instid0(SALU_CYCLE_1)
	s_xor_b32 s16, exec_lo, s16
	s_cbranch_execz .LBB15_15
; %bb.14:                               ;   in Loop: Header=BB15_6 Depth=1
	ds_load_b64 v[4:5], v12 offset:16392
	s_mov_b32 s9, exec_lo
	s_wait_dscnt 0x0
	v_pk_add_f32 v[4:5], v[6:7], v[4:5]
.LBB15_15:                              ;   in Loop: Header=BB15_6 Depth=1
	s_or_b32 exec_lo, exec_lo, s16
	s_delay_alu instid0(SALU_CYCLE_1)
	s_and_b32 vcc_lo, exec_lo, s15
	s_cbranch_vccnz .LBB15_18
.LBB15_16:                              ;   in Loop: Header=BB15_6 Depth=1
	s_delay_alu instid0(VALU_DEP_1)
	v_mov_b64_e32 v[2:3], v[4:5]
	s_and_saveexec_b32 s15, s9
	s_cbranch_execnz .LBB15_19
	s_branch .LBB15_20
.LBB15_17:                              ;   in Loop: Header=BB15_6 Depth=1
	s_mov_b32 s9, 0
                                        ; implicit-def: $vgpr4_vgpr5
	s_cbranch_execz .LBB15_16
.LBB15_18:                              ;   in Loop: Header=BB15_6 Depth=1
	s_and_not1_b32 s9, s9, exec_lo
	s_and_b32 s15, s1, exec_lo
	s_delay_alu instid0(SALU_CYCLE_1) | instskip(NEXT) | instid1(SALU_CYCLE_1)
	s_or_b32 s9, s9, s15
	s_and_saveexec_b32 s15, s9
.LBB15_19:                              ;   in Loop: Header=BB15_6 Depth=1
	ds_store_b64 v12, v[2:3] offset:16384
.LBB15_20:                              ;   in Loop: Header=BB15_6 Depth=1
	s_or_b32 exec_lo, exec_lo, s15
	s_wait_dscnt 0x0
	s_barrier_signal -1
	s_barrier_wait -1
	s_and_saveexec_b32 s9, s2
	s_cbranch_execz .LBB15_5
; %bb.21:                               ;   in Loop: Header=BB15_6 Depth=1
	global_load_b64 v[2:3], v12, s[4:5]
	ds_load_b64 v[6:7], v12 offset:16384
	s_mov_b32 s15, 0
	s_wait_loadcnt_dscnt 0x0
	v_dual_mul_f32 v4, v2, v7 :: v_dual_mul_f32 v5, v2, v6
	v_xor_b32_e32 v13, 0x80000000, v3
	s_delay_alu instid0(VALU_DEP_2) | instskip(NEXT) | instid1(VALU_DEP_3)
	v_xor_b32_e32 v2, 0x80000000, v4
	v_xor_b32_e32 v4, 0x80000000, v5
	s_delay_alu instid0(VALU_DEP_1) | instskip(SKIP_1) | instid1(VALU_DEP_2)
	v_dual_fmac_f32 v2, v6, v13 :: v_dual_fmac_f32 v4, v3, v7
	v_dual_mov_b32 v6, v1 :: v_dual_mov_b32 v7, v9
	v_dual_mov_b32 v13, v0 :: v_dual_mov_b32 v3, v2
	s_delay_alu instid0(VALU_DEP_3)
	v_mov_b32_e32 v5, v4
.LBB15_22:                              ;   Parent Loop BB15_6 Depth=1
                                        ; =>  This Inner Loop Header: Depth=2
	flat_load_b64 v[14:15], v7, s[10:11] scale_offset
	ds_load_b64 v[16:17], v6
	v_add_nc_u32_e32 v6, 0x200, v6
	v_add_nc_u32_e32 v13, 64, v13
	s_delay_alu instid0(VALU_DEP_1) | instskip(SKIP_3) | instid1(VALU_DEP_1)
	v_cmp_le_i32_e32 vcc_lo, s13, v13
	s_or_b32 s15, vcc_lo, s15
	s_wait_dscnt 0x0
	v_pk_mul_f32 v[18:19], v[4:5], v[16:17]
	v_pk_fma_f32 v[20:21], v[2:3], v[16:17], v[18:19] op_sel:[0,1,0] op_sel_hi:[1,0,1] neg_lo:[0,0,1] neg_hi:[0,0,1]
	v_pk_fma_f32 v[16:17], v[2:3], v[16:17], v[18:19] op_sel:[0,1,0] op_sel_hi:[1,0,1]
	s_delay_alu instid0(VALU_DEP_2) | instskip(SKIP_1) | instid1(VALU_DEP_1)
	v_mov_b32_e32 v17, v21
	s_wait_loadcnt 0x0
	v_pk_add_f32 v[14:15], v[14:15], v[16:17]
	flat_store_b64 v7, v[14:15], s[10:11] scale_offset
	s_wait_xcnt 0x0
	v_add_nc_u32_e32 v7, s14, v7
	s_and_not1_b32 exec_lo, exec_lo, s15
	s_cbranch_execnz .LBB15_22
	s_branch .LBB15_5
.LBB15_23:
	s_endpgm
	.section	.rodata,"a",@progbits
	.p2align	6, 0x0
	.amdhsa_kernel _ZN9rocsolver6v33100L23larf_right_kernel_smallILi64E19rocblas_complex_numIfEiPKPS3_EEvT1_S7_T2_lS7_lPKT0_lS8_lS7_l
		.amdhsa_group_segment_fixed_size 16400
		.amdhsa_private_segment_fixed_size 0
		.amdhsa_kernarg_size 88
		.amdhsa_user_sgpr_count 2
		.amdhsa_user_sgpr_dispatch_ptr 0
		.amdhsa_user_sgpr_queue_ptr 0
		.amdhsa_user_sgpr_kernarg_segment_ptr 1
		.amdhsa_user_sgpr_dispatch_id 0
		.amdhsa_user_sgpr_kernarg_preload_length 0
		.amdhsa_user_sgpr_kernarg_preload_offset 0
		.amdhsa_user_sgpr_private_segment_size 0
		.amdhsa_wavefront_size32 1
		.amdhsa_uses_dynamic_stack 0
		.amdhsa_enable_private_segment 0
		.amdhsa_system_sgpr_workgroup_id_x 1
		.amdhsa_system_sgpr_workgroup_id_y 1
		.amdhsa_system_sgpr_workgroup_id_z 0
		.amdhsa_system_sgpr_workgroup_info 0
		.amdhsa_system_vgpr_workitem_id 0
		.amdhsa_next_free_vgpr 113
		.amdhsa_next_free_sgpr 28
		.amdhsa_named_barrier_count 0
		.amdhsa_reserve_vcc 1
		.amdhsa_float_round_mode_32 0
		.amdhsa_float_round_mode_16_64 0
		.amdhsa_float_denorm_mode_32 3
		.amdhsa_float_denorm_mode_16_64 3
		.amdhsa_fp16_overflow 0
		.amdhsa_memory_ordered 1
		.amdhsa_forward_progress 1
		.amdhsa_inst_pref_size 11
		.amdhsa_round_robin_scheduling 0
		.amdhsa_exception_fp_ieee_invalid_op 0
		.amdhsa_exception_fp_denorm_src 0
		.amdhsa_exception_fp_ieee_div_zero 0
		.amdhsa_exception_fp_ieee_overflow 0
		.amdhsa_exception_fp_ieee_underflow 0
		.amdhsa_exception_fp_ieee_inexact 0
		.amdhsa_exception_int_div_zero 0
	.end_amdhsa_kernel
	.section	.text._ZN9rocsolver6v33100L23larf_right_kernel_smallILi64E19rocblas_complex_numIfEiPKPS3_EEvT1_S7_T2_lS7_lPKT0_lS8_lS7_l,"axG",@progbits,_ZN9rocsolver6v33100L23larf_right_kernel_smallILi64E19rocblas_complex_numIfEiPKPS3_EEvT1_S7_T2_lS7_lPKT0_lS8_lS7_l,comdat
.Lfunc_end15:
	.size	_ZN9rocsolver6v33100L23larf_right_kernel_smallILi64E19rocblas_complex_numIfEiPKPS3_EEvT1_S7_T2_lS7_lPKT0_lS8_lS7_l, .Lfunc_end15-_ZN9rocsolver6v33100L23larf_right_kernel_smallILi64E19rocblas_complex_numIfEiPKPS3_EEvT1_S7_T2_lS7_lPKT0_lS8_lS7_l
                                        ; -- End function
	.set _ZN9rocsolver6v33100L23larf_right_kernel_smallILi64E19rocblas_complex_numIfEiPKPS3_EEvT1_S7_T2_lS7_lPKT0_lS8_lS7_l.num_vgpr, 22
	.set _ZN9rocsolver6v33100L23larf_right_kernel_smallILi64E19rocblas_complex_numIfEiPKPS3_EEvT1_S7_T2_lS7_lPKT0_lS8_lS7_l.num_agpr, 0
	.set _ZN9rocsolver6v33100L23larf_right_kernel_smallILi64E19rocblas_complex_numIfEiPKPS3_EEvT1_S7_T2_lS7_lPKT0_lS8_lS7_l.numbered_sgpr, 28
	.set _ZN9rocsolver6v33100L23larf_right_kernel_smallILi64E19rocblas_complex_numIfEiPKPS3_EEvT1_S7_T2_lS7_lPKT0_lS8_lS7_l.num_named_barrier, 0
	.set _ZN9rocsolver6v33100L23larf_right_kernel_smallILi64E19rocblas_complex_numIfEiPKPS3_EEvT1_S7_T2_lS7_lPKT0_lS8_lS7_l.private_seg_size, 0
	.set _ZN9rocsolver6v33100L23larf_right_kernel_smallILi64E19rocblas_complex_numIfEiPKPS3_EEvT1_S7_T2_lS7_lPKT0_lS8_lS7_l.uses_vcc, 1
	.set _ZN9rocsolver6v33100L23larf_right_kernel_smallILi64E19rocblas_complex_numIfEiPKPS3_EEvT1_S7_T2_lS7_lPKT0_lS8_lS7_l.uses_flat_scratch, 0
	.set _ZN9rocsolver6v33100L23larf_right_kernel_smallILi64E19rocblas_complex_numIfEiPKPS3_EEvT1_S7_T2_lS7_lPKT0_lS8_lS7_l.has_dyn_sized_stack, 0
	.set _ZN9rocsolver6v33100L23larf_right_kernel_smallILi64E19rocblas_complex_numIfEiPKPS3_EEvT1_S7_T2_lS7_lPKT0_lS8_lS7_l.has_recursion, 0
	.set _ZN9rocsolver6v33100L23larf_right_kernel_smallILi64E19rocblas_complex_numIfEiPKPS3_EEvT1_S7_T2_lS7_lPKT0_lS8_lS7_l.has_indirect_call, 0
	.section	.AMDGPU.csdata,"",@progbits
; Kernel info:
; codeLenInByte = 1288
; TotalNumSgprs: 30
; NumVgprs: 22
; ScratchSize: 0
; MemoryBound: 0
; FloatMode: 240
; IeeeMode: 1
; LDSByteSize: 16400 bytes/workgroup (compile time only)
; SGPRBlocks: 0
; VGPRBlocks: 7
; NumSGPRsForWavesPerEU: 30
; NumVGPRsForWavesPerEU: 113
; NamedBarCnt: 0
; Occupancy: 8
; WaveLimiterHint : 1
; COMPUTE_PGM_RSRC2:SCRATCH_EN: 0
; COMPUTE_PGM_RSRC2:USER_SGPR: 2
; COMPUTE_PGM_RSRC2:TRAP_HANDLER: 0
; COMPUTE_PGM_RSRC2:TGID_X_EN: 1
; COMPUTE_PGM_RSRC2:TGID_Y_EN: 1
; COMPUTE_PGM_RSRC2:TGID_Z_EN: 0
; COMPUTE_PGM_RSRC2:TIDIG_COMP_CNT: 0
	.section	.text._ZN9rocsolver6v33100L23larf_right_kernel_smallILi128E19rocblas_complex_numIfEiPKPS3_EEvT1_S7_T2_lS7_lPKT0_lS8_lS7_l,"axG",@progbits,_ZN9rocsolver6v33100L23larf_right_kernel_smallILi128E19rocblas_complex_numIfEiPKPS3_EEvT1_S7_T2_lS7_lPKT0_lS8_lS7_l,comdat
	.globl	_ZN9rocsolver6v33100L23larf_right_kernel_smallILi128E19rocblas_complex_numIfEiPKPS3_EEvT1_S7_T2_lS7_lPKT0_lS8_lS7_l ; -- Begin function _ZN9rocsolver6v33100L23larf_right_kernel_smallILi128E19rocblas_complex_numIfEiPKPS3_EEvT1_S7_T2_lS7_lPKT0_lS8_lS7_l
	.p2align	8
	.type	_ZN9rocsolver6v33100L23larf_right_kernel_smallILi128E19rocblas_complex_numIfEiPKPS3_EEvT1_S7_T2_lS7_lPKT0_lS8_lS7_l,@function
_ZN9rocsolver6v33100L23larf_right_kernel_smallILi128E19rocblas_complex_numIfEiPKPS3_EEvT1_S7_T2_lS7_lPKT0_lS8_lS7_l: ; @_ZN9rocsolver6v33100L23larf_right_kernel_smallILi128E19rocblas_complex_numIfEiPKPS3_EEvT1_S7_T2_lS7_lPKT0_lS8_lS7_l
; %bb.0:
	s_load_b256 s[4:11], s[0:1], 0x28
	s_bfe_u32 s2, ttmp6, 0x4000c
	s_and_b32 s12, ttmp6, 15
	s_add_co_i32 s2, s2, 1
	s_getreg_b32 s3, hwreg(HW_REG_IB_STS2, 6, 4)
	s_mul_i32 s2, ttmp9, s2
	v_lshlrev_b32_e32 v1, 3, v0
	s_add_co_i32 s12, s12, s2
	s_cmp_eq_u32 s3, 0
	s_mov_b32 s21, 0
	s_cselect_b32 s14, ttmp9, s12
	s_load_b64 s[12:13], s[0:1], 0x0
	s_ashr_i32 s15, s14, 31
	s_delay_alu instid0(SALU_CYCLE_1)
	s_lshl_b64 s[18:19], s[14:15], 3
	s_wait_kmcnt 0x0
	s_add_nc_u64 s[8:9], s[8:9], s[18:19]
	s_load_b64 s[16:17], s[8:9], 0x0
	v_cmp_gt_i32_e64 s2, s13, v0
	s_and_saveexec_b32 s20, s2
	s_cbranch_execz .LBB16_3
; %bb.1:
	s_clause 0x1
	s_load_b128 s[24:27], s[0:1], 0x8
	s_load_b32 s22, s[0:1], 0x18
	s_sub_co_i32 s23, 1, s13
	v_dual_mov_b32 v4, v0 :: v_dual_lshlrev_b32 v3, 3, v0
	s_wait_kmcnt 0x0
	s_add_nc_u64 s[8:9], s[24:25], s[18:19]
	s_lshl_b64 s[18:19], s[26:27], 3
	s_load_b64 s[8:9], s[8:9], 0x0
	s_mul_i32 s23, s22, s23
	s_cmp_lt_i32 s22, 1
	s_cselect_b32 s23, s23, 0
	s_delay_alu instid0(SALU_CYCLE_1)
	v_mad_u32 v2, v0, s22, s23
	s_wait_kmcnt 0x0
	s_add_nc_u64 s[8:9], s[8:9], s[18:19]
	s_lshl_b32 s18, s22, 7
.LBB16_2:                               ; =>This Inner Loop Header: Depth=1
	flat_load_b64 v[6:7], v2, s[8:9] scale_offset
	v_add_nc_u32_e32 v4, 0x80, v4
	s_wait_xcnt 0x0
	v_add_nc_u32_e32 v2, s18, v2
	s_delay_alu instid0(VALU_DEP_2)
	v_cmp_le_i32_e32 vcc_lo, s13, v4
	s_or_b32 s21, vcc_lo, s21
	s_wait_loadcnt_dscnt 0x0
	ds_store_b64 v3, v[6:7]
	v_add_nc_u32_e32 v3, 0x400, v3
	s_and_not1_b32 exec_lo, exec_lo, s21
	s_cbranch_execnz .LBB16_2
.LBB16_3:
	s_or_b32 exec_lo, exec_lo, s20
	s_wait_xcnt 0x0
	s_bfe_u32 s8, ttmp6, 0x40010
	s_bfe_u32 s9, ttmp6, 0x40004
	s_add_co_i32 s8, s8, 1
	s_wait_dscnt 0x0
	s_mul_i32 s8, ttmp7, s8
	s_barrier_signal -1
	s_add_co_i32 s9, s9, s8
	s_cmp_eq_u32 s3, 0
	s_barrier_wait -1
	s_cselect_b32 s8, ttmp7, s9
	s_delay_alu instid0(SALU_CYCLE_1)
	s_cmp_ge_i32 s8, s12
	s_cbranch_scc1 .LBB16_23
; %bb.4:
	s_load_b32 s9, s[0:1], 0x48
	v_dual_lshrrev_b32 v3, 2, v0 :: v_dual_bitop2_b32 v2, 31, v0 bitop3:0x40
	v_mbcnt_lo_u32_b32 v8, -1, 0
	s_wait_xcnt 0x0
	s_lshl_b64 s[0:1], s[10:11], 3
	s_mul_u64 s[10:11], s[6:7], s[14:15]
	s_wait_kmcnt 0x0
	s_add_nc_u64 s[6:7], s[16:17], s[0:1]
	s_lshl_b64 s[10:11], s[10:11], 3
	v_cmp_eq_u32_e64 s0, 0, v2
	v_cmp_eq_u32_e64 s1, 0, v0
	v_lshl_or_b32 v10, v8, 2, 64
	v_or_b32_e32 v11, 0x4000, v3
	v_dual_mov_b32 v12, 0x4008 :: v_dual_mov_b32 v13, 0
	s_cmp_gt_i32 s13, 1
	s_add_nc_u64 s[4:5], s[4:5], s[10:11]
	s_cselect_b32 s3, -1, 0
	v_mul_lo_u32 v9, v0, s9
	s_lshl_b32 s14, s9, 7
	s_branch .LBB16_6
.LBB16_5:                               ;   in Loop: Header=BB16_6 Depth=1
	s_or_b32 exec_lo, exec_lo, s9
	s_add_co_i32 s8, s8, 64
	s_delay_alu instid0(SALU_CYCLE_1)
	s_cmp_ge_i32 s8, s12
	s_cbranch_scc1 .LBB16_23
.LBB16_6:                               ; =>This Loop Header: Depth=1
                                        ;     Child Loop BB16_8 Depth 2
                                        ;     Child Loop BB16_22 Depth 2
	v_mov_b64_e32 v[2:3], 0
	s_ashr_i32 s9, s8, 31
	s_delay_alu instid0(SALU_CYCLE_1) | instskip(NEXT) | instid1(SALU_CYCLE_1)
	s_lshl_b64 s[10:11], s[8:9], 3
	s_add_nc_u64 s[10:11], s[6:7], s[10:11]
	s_and_saveexec_b32 s9, s2
	s_cbranch_execz .LBB16_10
; %bb.7:                                ;   in Loop: Header=BB16_6 Depth=1
	s_delay_alu instid0(VALU_DEP_2) | instskip(SKIP_2) | instid1(VALU_DEP_2)
	v_dual_mov_b32 v3, 0 :: v_dual_mov_b32 v4, v9
	v_dual_mov_b32 v5, v1 :: v_dual_mov_b32 v6, v0
	s_mov_b32 s15, 0
	v_mov_b32_e32 v2, v3
.LBB16_8:                               ;   Parent Loop BB16_6 Depth=1
                                        ; =>  This Inner Loop Header: Depth=2
	flat_load_b64 v[14:15], v4, s[10:11] scale_offset
	ds_load_b64 v[16:17], v5
	v_add_nc_u32_e32 v5, 0x400, v5
	s_wait_loadcnt_dscnt 0x0
	s_wait_xcnt 0x0
	v_dual_mul_f32 v7, v15, v17 :: v_dual_add_nc_u32 v4, s14, v4
	v_dual_mul_f32 v19, v14, v17 :: v_dual_add_nc_u32 v6, 0x80, v6
	s_delay_alu instid0(VALU_DEP_2) | instskip(NEXT) | instid1(VALU_DEP_2)
	v_fma_f32 v18, v14, v16, -v7
	v_fmac_f32_e32 v19, v15, v16
	s_delay_alu instid0(VALU_DEP_3) | instskip(NEXT) | instid1(VALU_DEP_2)
	v_cmp_le_i32_e32 vcc_lo, s13, v6
	v_pk_add_f32 v[2:3], v[2:3], v[18:19]
	s_or_b32 s15, vcc_lo, s15
	s_delay_alu instid0(SALU_CYCLE_1)
	s_and_not1_b32 exec_lo, exec_lo, s15
	s_cbranch_execnz .LBB16_8
; %bb.9:                                ;   in Loop: Header=BB16_6 Depth=1
	s_or_b32 exec_lo, exec_lo, s15
.LBB16_10:                              ;   in Loop: Header=BB16_6 Depth=1
	s_delay_alu instid0(SALU_CYCLE_1) | instskip(NEXT) | instid1(SALU_CYCLE_1)
	s_or_b32 exec_lo, exec_lo, s9
	s_and_b32 vcc_lo, exec_lo, s3
	s_cbranch_vccz .LBB16_17
; %bb.11:                               ;   in Loop: Header=BB16_6 Depth=1
	v_cmp_ne_u32_e32 vcc_lo, 31, v8
	v_add_co_ci_u32_e64 v4, null, 0, v8, vcc_lo
	v_cmp_gt_u32_e32 vcc_lo, 30, v8
	s_delay_alu instid0(VALU_DEP_2)
	v_lshlrev_b32_e32 v5, 2, v4
	v_cndmask_b32_e64 v6, 0, 2, vcc_lo
	v_cmp_gt_u32_e32 vcc_lo, 28, v8
	ds_bpermute_b32 v4, v5, v2
	ds_bpermute_b32 v5, v5, v3
	v_add_lshl_u32 v7, v6, v8, 2
	v_cndmask_b32_e64 v14, 0, 4, vcc_lo
	v_cmp_gt_u32_e32 vcc_lo, 24, v8
	s_delay_alu instid0(VALU_DEP_2)
	v_add_lshl_u32 v14, v14, v8, 2
	s_wait_dscnt 0x0
	v_pk_add_f32 v[4:5], v[2:3], v[4:5]
	ds_bpermute_b32 v6, v7, v4
	ds_bpermute_b32 v7, v7, v5
	s_wait_dscnt 0x0
	v_pk_add_f32 v[4:5], v[4:5], v[6:7]
	ds_bpermute_b32 v6, v14, v4
	ds_bpermute_b32 v7, v14, v5
	v_cndmask_b32_e64 v14, 0, 8, vcc_lo
	s_delay_alu instid0(VALU_DEP_1)
	v_add_lshl_u32 v14, v14, v8, 2
	s_wait_dscnt 0x0
	v_pk_add_f32 v[4:5], v[4:5], v[6:7]
	ds_bpermute_b32 v6, v14, v4
	ds_bpermute_b32 v7, v14, v5
	s_wait_dscnt 0x0
	v_pk_add_f32 v[4:5], v[4:5], v[6:7]
	ds_bpermute_b32 v6, v10, v4
	ds_bpermute_b32 v7, v10, v5
	s_wait_dscnt 0x0
	v_pk_add_f32 v[4:5], v[4:5], v[6:7]
	s_and_saveexec_b32 s9, s0
; %bb.12:                               ;   in Loop: Header=BB16_6 Depth=1
	ds_store_2addr_b32 v11, v4, v5 offset1:1
; %bb.13:                               ;   in Loop: Header=BB16_6 Depth=1
	s_or_b32 exec_lo, exec_lo, s9
	s_mov_b32 s15, 0
	s_mov_b32 s9, 0
	s_wait_dscnt 0x0
	s_barrier_signal -1
	s_barrier_wait -1
                                        ; implicit-def: $vgpr6_vgpr7
	s_and_saveexec_b32 s16, s1
	s_delay_alu instid0(SALU_CYCLE_1)
	s_xor_b32 s16, exec_lo, s16
	s_cbranch_execz .LBB16_15
; %bb.14:                               ;   in Loop: Header=BB16_6 Depth=1
	ds_load_2addr_b64 v[14:17], v12 offset1:1
	ds_load_b64 v[6:7], v13 offset:16408
	s_mov_b32 s9, exec_lo
	s_wait_dscnt 0x1
	v_pk_add_f32 v[4:5], v[4:5], v[14:15]
	s_delay_alu instid0(VALU_DEP_1) | instskip(SKIP_1) | instid1(VALU_DEP_1)
	v_pk_add_f32 v[4:5], v[4:5], v[16:17]
	s_wait_dscnt 0x0
	v_pk_add_f32 v[6:7], v[4:5], v[6:7]
.LBB16_15:                              ;   in Loop: Header=BB16_6 Depth=1
	s_or_b32 exec_lo, exec_lo, s16
	s_delay_alu instid0(SALU_CYCLE_1)
	s_and_b32 vcc_lo, exec_lo, s15
	s_cbranch_vccnz .LBB16_18
.LBB16_16:                              ;   in Loop: Header=BB16_6 Depth=1
	s_delay_alu instid0(VALU_DEP_1)
	v_mov_b64_e32 v[2:3], v[6:7]
	s_and_saveexec_b32 s15, s9
	s_cbranch_execnz .LBB16_19
	s_branch .LBB16_20
.LBB16_17:                              ;   in Loop: Header=BB16_6 Depth=1
	s_mov_b32 s9, 0
                                        ; implicit-def: $vgpr6_vgpr7
	s_cbranch_execz .LBB16_16
.LBB16_18:                              ;   in Loop: Header=BB16_6 Depth=1
	s_and_not1_b32 s9, s9, exec_lo
	s_and_b32 s15, s1, exec_lo
	s_delay_alu instid0(SALU_CYCLE_1) | instskip(NEXT) | instid1(SALU_CYCLE_1)
	s_or_b32 s9, s9, s15
	s_and_saveexec_b32 s15, s9
.LBB16_19:                              ;   in Loop: Header=BB16_6 Depth=1
	ds_store_b64 v13, v[2:3] offset:16384
.LBB16_20:                              ;   in Loop: Header=BB16_6 Depth=1
	s_or_b32 exec_lo, exec_lo, s15
	s_wait_dscnt 0x0
	s_barrier_signal -1
	s_barrier_wait -1
	s_and_saveexec_b32 s9, s2
	s_cbranch_execz .LBB16_5
; %bb.21:                               ;   in Loop: Header=BB16_6 Depth=1
	global_load_b64 v[2:3], v13, s[4:5]
	ds_load_b64 v[6:7], v13 offset:16384
	s_mov_b32 s15, 0
	s_wait_loadcnt_dscnt 0x0
	v_dual_mul_f32 v4, v2, v7 :: v_dual_mul_f32 v5, v2, v6
	v_xor_b32_e32 v14, 0x80000000, v3
	s_delay_alu instid0(VALU_DEP_2) | instskip(NEXT) | instid1(VALU_DEP_3)
	v_xor_b32_e32 v2, 0x80000000, v4
	v_xor_b32_e32 v4, 0x80000000, v5
	s_delay_alu instid0(VALU_DEP_1) | instskip(SKIP_1) | instid1(VALU_DEP_2)
	v_dual_fmac_f32 v2, v6, v14 :: v_dual_fmac_f32 v4, v3, v7
	v_dual_mov_b32 v6, v1 :: v_dual_mov_b32 v7, v9
	v_dual_mov_b32 v14, v0 :: v_dual_mov_b32 v3, v2
	s_delay_alu instid0(VALU_DEP_3)
	v_mov_b32_e32 v5, v4
.LBB16_22:                              ;   Parent Loop BB16_6 Depth=1
                                        ; =>  This Inner Loop Header: Depth=2
	flat_load_b64 v[16:17], v7, s[10:11] scale_offset
	ds_load_b64 v[18:19], v6
	v_add_nc_u32_e32 v6, 0x400, v6
	v_add_nc_u32_e32 v14, 0x80, v14
	s_delay_alu instid0(VALU_DEP_1) | instskip(SKIP_3) | instid1(VALU_DEP_1)
	v_cmp_le_i32_e32 vcc_lo, s13, v14
	s_or_b32 s15, vcc_lo, s15
	s_wait_dscnt 0x0
	v_pk_mul_f32 v[20:21], v[4:5], v[18:19]
	v_pk_fma_f32 v[22:23], v[2:3], v[18:19], v[20:21] op_sel:[0,1,0] op_sel_hi:[1,0,1] neg_lo:[0,0,1] neg_hi:[0,0,1]
	v_pk_fma_f32 v[18:19], v[2:3], v[18:19], v[20:21] op_sel:[0,1,0] op_sel_hi:[1,0,1]
	s_delay_alu instid0(VALU_DEP_2) | instskip(SKIP_1) | instid1(VALU_DEP_1)
	v_mov_b32_e32 v19, v23
	s_wait_loadcnt 0x0
	v_pk_add_f32 v[16:17], v[16:17], v[18:19]
	flat_store_b64 v7, v[16:17], s[10:11] scale_offset
	s_wait_xcnt 0x0
	v_add_nc_u32_e32 v7, s14, v7
	s_and_not1_b32 exec_lo, exec_lo, s15
	s_cbranch_execnz .LBB16_22
	s_branch .LBB16_5
.LBB16_23:
	s_endpgm
	.section	.rodata,"a",@progbits
	.p2align	6, 0x0
	.amdhsa_kernel _ZN9rocsolver6v33100L23larf_right_kernel_smallILi128E19rocblas_complex_numIfEiPKPS3_EEvT1_S7_T2_lS7_lPKT0_lS8_lS7_l
		.amdhsa_group_segment_fixed_size 16416
		.amdhsa_private_segment_fixed_size 0
		.amdhsa_kernarg_size 88
		.amdhsa_user_sgpr_count 2
		.amdhsa_user_sgpr_dispatch_ptr 0
		.amdhsa_user_sgpr_queue_ptr 0
		.amdhsa_user_sgpr_kernarg_segment_ptr 1
		.amdhsa_user_sgpr_dispatch_id 0
		.amdhsa_user_sgpr_kernarg_preload_length 0
		.amdhsa_user_sgpr_kernarg_preload_offset 0
		.amdhsa_user_sgpr_private_segment_size 0
		.amdhsa_wavefront_size32 1
		.amdhsa_uses_dynamic_stack 0
		.amdhsa_enable_private_segment 0
		.amdhsa_system_sgpr_workgroup_id_x 1
		.amdhsa_system_sgpr_workgroup_id_y 1
		.amdhsa_system_sgpr_workgroup_id_z 0
		.amdhsa_system_sgpr_workgroup_info 0
		.amdhsa_system_vgpr_workitem_id 0
		.amdhsa_next_free_vgpr 24
		.amdhsa_next_free_sgpr 28
		.amdhsa_named_barrier_count 0
		.amdhsa_reserve_vcc 1
		.amdhsa_float_round_mode_32 0
		.amdhsa_float_round_mode_16_64 0
		.amdhsa_float_denorm_mode_32 3
		.amdhsa_float_denorm_mode_16_64 3
		.amdhsa_fp16_overflow 0
		.amdhsa_memory_ordered 1
		.amdhsa_forward_progress 1
		.amdhsa_inst_pref_size 11
		.amdhsa_round_robin_scheduling 0
		.amdhsa_exception_fp_ieee_invalid_op 0
		.amdhsa_exception_fp_denorm_src 0
		.amdhsa_exception_fp_ieee_div_zero 0
		.amdhsa_exception_fp_ieee_overflow 0
		.amdhsa_exception_fp_ieee_underflow 0
		.amdhsa_exception_fp_ieee_inexact 0
		.amdhsa_exception_int_div_zero 0
	.end_amdhsa_kernel
	.section	.text._ZN9rocsolver6v33100L23larf_right_kernel_smallILi128E19rocblas_complex_numIfEiPKPS3_EEvT1_S7_T2_lS7_lPKT0_lS8_lS7_l,"axG",@progbits,_ZN9rocsolver6v33100L23larf_right_kernel_smallILi128E19rocblas_complex_numIfEiPKPS3_EEvT1_S7_T2_lS7_lPKT0_lS8_lS7_l,comdat
.Lfunc_end16:
	.size	_ZN9rocsolver6v33100L23larf_right_kernel_smallILi128E19rocblas_complex_numIfEiPKPS3_EEvT1_S7_T2_lS7_lPKT0_lS8_lS7_l, .Lfunc_end16-_ZN9rocsolver6v33100L23larf_right_kernel_smallILi128E19rocblas_complex_numIfEiPKPS3_EEvT1_S7_T2_lS7_lPKT0_lS8_lS7_l
                                        ; -- End function
	.set _ZN9rocsolver6v33100L23larf_right_kernel_smallILi128E19rocblas_complex_numIfEiPKPS3_EEvT1_S7_T2_lS7_lPKT0_lS8_lS7_l.num_vgpr, 24
	.set _ZN9rocsolver6v33100L23larf_right_kernel_smallILi128E19rocblas_complex_numIfEiPKPS3_EEvT1_S7_T2_lS7_lPKT0_lS8_lS7_l.num_agpr, 0
	.set _ZN9rocsolver6v33100L23larf_right_kernel_smallILi128E19rocblas_complex_numIfEiPKPS3_EEvT1_S7_T2_lS7_lPKT0_lS8_lS7_l.numbered_sgpr, 28
	.set _ZN9rocsolver6v33100L23larf_right_kernel_smallILi128E19rocblas_complex_numIfEiPKPS3_EEvT1_S7_T2_lS7_lPKT0_lS8_lS7_l.num_named_barrier, 0
	.set _ZN9rocsolver6v33100L23larf_right_kernel_smallILi128E19rocblas_complex_numIfEiPKPS3_EEvT1_S7_T2_lS7_lPKT0_lS8_lS7_l.private_seg_size, 0
	.set _ZN9rocsolver6v33100L23larf_right_kernel_smallILi128E19rocblas_complex_numIfEiPKPS3_EEvT1_S7_T2_lS7_lPKT0_lS8_lS7_l.uses_vcc, 1
	.set _ZN9rocsolver6v33100L23larf_right_kernel_smallILi128E19rocblas_complex_numIfEiPKPS3_EEvT1_S7_T2_lS7_lPKT0_lS8_lS7_l.uses_flat_scratch, 0
	.set _ZN9rocsolver6v33100L23larf_right_kernel_smallILi128E19rocblas_complex_numIfEiPKPS3_EEvT1_S7_T2_lS7_lPKT0_lS8_lS7_l.has_dyn_sized_stack, 0
	.set _ZN9rocsolver6v33100L23larf_right_kernel_smallILi128E19rocblas_complex_numIfEiPKPS3_EEvT1_S7_T2_lS7_lPKT0_lS8_lS7_l.has_recursion, 0
	.set _ZN9rocsolver6v33100L23larf_right_kernel_smallILi128E19rocblas_complex_numIfEiPKPS3_EEvT1_S7_T2_lS7_lPKT0_lS8_lS7_l.has_indirect_call, 0
	.section	.AMDGPU.csdata,"",@progbits
; Kernel info:
; codeLenInByte = 1320
; TotalNumSgprs: 30
; NumVgprs: 24
; ScratchSize: 0
; MemoryBound: 0
; FloatMode: 240
; IeeeMode: 1
; LDSByteSize: 16416 bytes/workgroup (compile time only)
; SGPRBlocks: 0
; VGPRBlocks: 1
; NumSGPRsForWavesPerEU: 30
; NumVGPRsForWavesPerEU: 24
; NamedBarCnt: 0
; Occupancy: 16
; WaveLimiterHint : 1
; COMPUTE_PGM_RSRC2:SCRATCH_EN: 0
; COMPUTE_PGM_RSRC2:USER_SGPR: 2
; COMPUTE_PGM_RSRC2:TRAP_HANDLER: 0
; COMPUTE_PGM_RSRC2:TGID_X_EN: 1
; COMPUTE_PGM_RSRC2:TGID_Y_EN: 1
; COMPUTE_PGM_RSRC2:TGID_Z_EN: 0
; COMPUTE_PGM_RSRC2:TIDIG_COMP_CNT: 0
	.section	.text._ZN9rocsolver6v33100L23larf_right_kernel_smallILi256E19rocblas_complex_numIfEiPKPS3_EEvT1_S7_T2_lS7_lPKT0_lS8_lS7_l,"axG",@progbits,_ZN9rocsolver6v33100L23larf_right_kernel_smallILi256E19rocblas_complex_numIfEiPKPS3_EEvT1_S7_T2_lS7_lPKT0_lS8_lS7_l,comdat
	.globl	_ZN9rocsolver6v33100L23larf_right_kernel_smallILi256E19rocblas_complex_numIfEiPKPS3_EEvT1_S7_T2_lS7_lPKT0_lS8_lS7_l ; -- Begin function _ZN9rocsolver6v33100L23larf_right_kernel_smallILi256E19rocblas_complex_numIfEiPKPS3_EEvT1_S7_T2_lS7_lPKT0_lS8_lS7_l
	.p2align	8
	.type	_ZN9rocsolver6v33100L23larf_right_kernel_smallILi256E19rocblas_complex_numIfEiPKPS3_EEvT1_S7_T2_lS7_lPKT0_lS8_lS7_l,@function
_ZN9rocsolver6v33100L23larf_right_kernel_smallILi256E19rocblas_complex_numIfEiPKPS3_EEvT1_S7_T2_lS7_lPKT0_lS8_lS7_l: ; @_ZN9rocsolver6v33100L23larf_right_kernel_smallILi256E19rocblas_complex_numIfEiPKPS3_EEvT1_S7_T2_lS7_lPKT0_lS8_lS7_l
; %bb.0:
	s_load_b256 s[4:11], s[0:1], 0x28
	s_bfe_u32 s2, ttmp6, 0x4000c
	s_and_b32 s12, ttmp6, 15
	s_add_co_i32 s2, s2, 1
	s_getreg_b32 s3, hwreg(HW_REG_IB_STS2, 6, 4)
	s_mul_i32 s2, ttmp9, s2
	v_lshlrev_b32_e32 v1, 3, v0
	s_add_co_i32 s12, s12, s2
	s_cmp_eq_u32 s3, 0
	s_mov_b32 s21, 0
	s_cselect_b32 s14, ttmp9, s12
	s_load_b64 s[12:13], s[0:1], 0x0
	s_ashr_i32 s15, s14, 31
	s_delay_alu instid0(SALU_CYCLE_1)
	s_lshl_b64 s[18:19], s[14:15], 3
	s_wait_kmcnt 0x0
	s_add_nc_u64 s[8:9], s[8:9], s[18:19]
	s_load_b64 s[16:17], s[8:9], 0x0
	v_cmp_gt_i32_e64 s2, s13, v0
	s_and_saveexec_b32 s20, s2
	s_cbranch_execz .LBB17_3
; %bb.1:
	s_clause 0x1
	s_load_b128 s[24:27], s[0:1], 0x8
	s_load_b32 s22, s[0:1], 0x18
	s_sub_co_i32 s23, 1, s13
	v_dual_mov_b32 v4, v0 :: v_dual_lshlrev_b32 v3, 3, v0
	s_wait_kmcnt 0x0
	s_add_nc_u64 s[8:9], s[24:25], s[18:19]
	s_lshl_b64 s[18:19], s[26:27], 3
	s_load_b64 s[8:9], s[8:9], 0x0
	s_mul_i32 s23, s22, s23
	s_cmp_lt_i32 s22, 1
	s_cselect_b32 s23, s23, 0
	s_delay_alu instid0(SALU_CYCLE_1)
	v_mad_u32 v2, v0, s22, s23
	s_wait_kmcnt 0x0
	s_add_nc_u64 s[8:9], s[8:9], s[18:19]
	s_lshl_b32 s18, s22, 8
.LBB17_2:                               ; =>This Inner Loop Header: Depth=1
	flat_load_b64 v[6:7], v2, s[8:9] scale_offset
	v_add_nc_u32_e32 v4, 0x100, v4
	s_wait_xcnt 0x0
	v_add_nc_u32_e32 v2, s18, v2
	s_delay_alu instid0(VALU_DEP_2)
	v_cmp_le_i32_e32 vcc_lo, s13, v4
	s_or_b32 s21, vcc_lo, s21
	s_wait_loadcnt_dscnt 0x0
	ds_store_b64 v3, v[6:7]
	v_add_nc_u32_e32 v3, 0x800, v3
	s_and_not1_b32 exec_lo, exec_lo, s21
	s_cbranch_execnz .LBB17_2
.LBB17_3:
	s_or_b32 exec_lo, exec_lo, s20
	s_wait_xcnt 0x0
	s_bfe_u32 s8, ttmp6, 0x40010
	s_bfe_u32 s9, ttmp6, 0x40004
	s_add_co_i32 s8, s8, 1
	s_wait_dscnt 0x0
	s_mul_i32 s8, ttmp7, s8
	s_barrier_signal -1
	s_add_co_i32 s9, s9, s8
	s_cmp_eq_u32 s3, 0
	s_barrier_wait -1
	s_cselect_b32 s8, ttmp7, s9
	s_delay_alu instid0(SALU_CYCLE_1)
	s_cmp_ge_i32 s8, s12
	s_cbranch_scc1 .LBB17_23
; %bb.4:
	s_load_b32 s9, s[0:1], 0x48
	v_dual_lshrrev_b32 v3, 2, v0 :: v_dual_bitop2_b32 v2, 31, v0 bitop3:0x40
	v_mbcnt_lo_u32_b32 v8, -1, 0
	s_wait_xcnt 0x0
	s_lshl_b64 s[0:1], s[10:11], 3
	v_dual_mov_b32 v12, 0x4008 :: v_dual_mov_b32 v15, 0
	s_wait_kmcnt 0x0
	s_add_nc_u64 s[10:11], s[16:17], s[0:1]
	s_mul_u64 s[0:1], s[6:7], s[14:15]
	v_lshl_or_b32 v10, v8, 2, 64
	s_lshl_b64 s[6:7], s[0:1], 3
	v_cmp_eq_u32_e64 s0, 0, v2
	v_cmp_eq_u32_e64 s1, 0, v0
	v_or_b32_e32 v11, 0x4000, v3
	v_mov_b32_e32 v13, 0x4018
	v_mov_b32_e32 v14, 0x4028
	s_cmp_gt_i32 s13, 1
	s_add_nc_u64 s[4:5], s[4:5], s[6:7]
	s_cselect_b32 s3, -1, 0
	v_mul_lo_u32 v9, v0, s9
	s_lshl_b32 s14, s9, 8
	s_branch .LBB17_6
.LBB17_5:                               ;   in Loop: Header=BB17_6 Depth=1
	s_or_b32 exec_lo, exec_lo, s9
	s_add_co_i32 s8, s8, 64
	s_delay_alu instid0(SALU_CYCLE_1)
	s_cmp_ge_i32 s8, s12
	s_cbranch_scc1 .LBB17_23
.LBB17_6:                               ; =>This Loop Header: Depth=1
                                        ;     Child Loop BB17_8 Depth 2
                                        ;     Child Loop BB17_22 Depth 2
	v_mov_b64_e32 v[2:3], 0
	s_ashr_i32 s9, s8, 31
	s_delay_alu instid0(SALU_CYCLE_1) | instskip(NEXT) | instid1(SALU_CYCLE_1)
	s_lshl_b64 s[6:7], s[8:9], 3
	s_add_nc_u64 s[6:7], s[10:11], s[6:7]
	s_and_saveexec_b32 s9, s2
	s_cbranch_execz .LBB17_10
; %bb.7:                                ;   in Loop: Header=BB17_6 Depth=1
	s_delay_alu instid0(VALU_DEP_2) | instskip(SKIP_2) | instid1(VALU_DEP_2)
	v_dual_mov_b32 v2, 0 :: v_dual_mov_b32 v4, v9
	v_dual_mov_b32 v5, v1 :: v_dual_mov_b32 v6, v0
	s_mov_b32 s15, 0
	v_mov_b32_e32 v3, v2
.LBB17_8:                               ;   Parent Loop BB17_6 Depth=1
                                        ; =>  This Inner Loop Header: Depth=2
	flat_load_b64 v[16:17], v4, s[6:7] scale_offset
	ds_load_b64 v[18:19], v5
	v_add_nc_u32_e32 v5, 0x800, v5
	s_wait_xcnt 0x0
	v_add_nc_u32_e32 v4, s14, v4
	s_wait_loadcnt_dscnt 0x0
	v_pk_mul_f32 v[20:21], v[16:17], v[18:19] op_sel:[1,1] op_sel_hi:[0,1]
	s_delay_alu instid0(VALU_DEP_1) | instskip(SKIP_2) | instid1(VALU_DEP_3)
	v_pk_fma_f32 v[22:23], v[16:17], v[18:19], v[20:21] op_sel_hi:[1,0,1]
	v_add_nc_u32_e32 v6, 0x100, v6
	v_pk_fma_f32 v[16:17], v[16:17], v[18:19], v[20:21] neg_lo:[0,0,1] neg_hi:[0,0,1]
	v_mov_b32_e32 v17, v23
	s_delay_alu instid0(VALU_DEP_3) | instskip(NEXT) | instid1(VALU_DEP_2)
	v_cmp_le_i32_e32 vcc_lo, s13, v6
	v_pk_add_f32 v[2:3], v[2:3], v[16:17]
	s_or_b32 s15, vcc_lo, s15
	s_delay_alu instid0(SALU_CYCLE_1)
	s_and_not1_b32 exec_lo, exec_lo, s15
	s_cbranch_execnz .LBB17_8
; %bb.9:                                ;   in Loop: Header=BB17_6 Depth=1
	s_or_b32 exec_lo, exec_lo, s15
.LBB17_10:                              ;   in Loop: Header=BB17_6 Depth=1
	s_delay_alu instid0(SALU_CYCLE_1) | instskip(NEXT) | instid1(SALU_CYCLE_1)
	s_or_b32 exec_lo, exec_lo, s9
	s_and_b32 vcc_lo, exec_lo, s3
	s_cbranch_vccz .LBB17_17
; %bb.11:                               ;   in Loop: Header=BB17_6 Depth=1
	v_cmp_ne_u32_e32 vcc_lo, 31, v8
	v_add_co_ci_u32_e64 v4, null, 0, v8, vcc_lo
	v_cmp_gt_u32_e32 vcc_lo, 30, v8
	s_delay_alu instid0(VALU_DEP_2)
	v_lshlrev_b32_e32 v5, 2, v4
	v_cndmask_b32_e64 v6, 0, 2, vcc_lo
	v_cmp_gt_u32_e32 vcc_lo, 28, v8
	ds_bpermute_b32 v4, v5, v2
	ds_bpermute_b32 v5, v5, v3
	v_add_lshl_u32 v7, v6, v8, 2
	v_cndmask_b32_e64 v16, 0, 4, vcc_lo
	v_cmp_gt_u32_e32 vcc_lo, 24, v8
	s_delay_alu instid0(VALU_DEP_2)
	v_add_lshl_u32 v16, v16, v8, 2
	s_wait_dscnt 0x0
	v_pk_add_f32 v[4:5], v[2:3], v[4:5]
	ds_bpermute_b32 v6, v7, v4
	ds_bpermute_b32 v7, v7, v5
	s_wait_dscnt 0x0
	v_pk_add_f32 v[4:5], v[4:5], v[6:7]
	ds_bpermute_b32 v6, v16, v4
	ds_bpermute_b32 v7, v16, v5
	v_cndmask_b32_e64 v16, 0, 8, vcc_lo
	s_delay_alu instid0(VALU_DEP_1)
	v_add_lshl_u32 v16, v16, v8, 2
	s_wait_dscnt 0x0
	v_pk_add_f32 v[4:5], v[4:5], v[6:7]
	ds_bpermute_b32 v6, v16, v4
	ds_bpermute_b32 v7, v16, v5
	s_wait_dscnt 0x0
	v_pk_add_f32 v[4:5], v[4:5], v[6:7]
	ds_bpermute_b32 v6, v10, v4
	ds_bpermute_b32 v7, v10, v5
	s_wait_dscnt 0x0
	v_pk_add_f32 v[4:5], v[4:5], v[6:7]
	s_and_saveexec_b32 s9, s0
; %bb.12:                               ;   in Loop: Header=BB17_6 Depth=1
	ds_store_2addr_b32 v11, v4, v5 offset1:1
; %bb.13:                               ;   in Loop: Header=BB17_6 Depth=1
	s_or_b32 exec_lo, exec_lo, s9
	s_mov_b32 s15, 0
	s_mov_b32 s9, 0
	s_wait_dscnt 0x0
	s_barrier_signal -1
	s_barrier_wait -1
                                        ; implicit-def: $vgpr6_vgpr7
	s_and_saveexec_b32 s16, s1
	s_delay_alu instid0(SALU_CYCLE_1)
	s_xor_b32 s16, exec_lo, s16
	s_cbranch_execz .LBB17_15
; %bb.14:                               ;   in Loop: Header=BB17_6 Depth=1
	ds_load_2addr_b64 v[16:19], v12 offset1:1
	ds_load_2addr_b64 v[20:23], v13 offset1:1
	s_mov_b32 s9, exec_lo
	s_wait_dscnt 0x1
	v_pk_add_f32 v[16:17], v[4:5], v[16:17]
	ds_load_2addr_b64 v[4:7], v14 offset1:1
	v_pk_add_f32 v[16:17], v[16:17], v[18:19]
	ds_load_b64 v[18:19], v15 offset:16440
	s_wait_dscnt 0x2
	v_pk_add_f32 v[16:17], v[16:17], v[20:21]
	s_delay_alu instid0(VALU_DEP_1) | instskip(SKIP_1) | instid1(VALU_DEP_1)
	v_pk_add_f32 v[16:17], v[16:17], v[22:23]
	s_wait_dscnt 0x1
	v_pk_add_f32 v[4:5], v[16:17], v[4:5]
	s_delay_alu instid0(VALU_DEP_1) | instskip(SKIP_1) | instid1(VALU_DEP_1)
	v_pk_add_f32 v[4:5], v[4:5], v[6:7]
	s_wait_dscnt 0x0
	v_pk_add_f32 v[6:7], v[4:5], v[18:19]
.LBB17_15:                              ;   in Loop: Header=BB17_6 Depth=1
	s_or_b32 exec_lo, exec_lo, s16
	s_delay_alu instid0(SALU_CYCLE_1)
	s_and_b32 vcc_lo, exec_lo, s15
	s_cbranch_vccnz .LBB17_18
.LBB17_16:                              ;   in Loop: Header=BB17_6 Depth=1
	s_delay_alu instid0(VALU_DEP_1)
	v_mov_b64_e32 v[2:3], v[6:7]
	s_and_saveexec_b32 s15, s9
	s_cbranch_execnz .LBB17_19
	s_branch .LBB17_20
.LBB17_17:                              ;   in Loop: Header=BB17_6 Depth=1
	s_mov_b32 s9, 0
                                        ; implicit-def: $vgpr6_vgpr7
	s_cbranch_execz .LBB17_16
.LBB17_18:                              ;   in Loop: Header=BB17_6 Depth=1
	s_and_not1_b32 s9, s9, exec_lo
	s_and_b32 s15, s1, exec_lo
	s_delay_alu instid0(SALU_CYCLE_1) | instskip(NEXT) | instid1(SALU_CYCLE_1)
	s_or_b32 s9, s9, s15
	s_and_saveexec_b32 s15, s9
.LBB17_19:                              ;   in Loop: Header=BB17_6 Depth=1
	ds_store_b64 v15, v[2:3] offset:16384
.LBB17_20:                              ;   in Loop: Header=BB17_6 Depth=1
	s_or_b32 exec_lo, exec_lo, s15
	s_wait_dscnt 0x0
	s_barrier_signal -1
	s_barrier_wait -1
	s_and_saveexec_b32 s9, s2
	s_cbranch_execz .LBB17_5
; %bb.21:                               ;   in Loop: Header=BB17_6 Depth=1
	global_load_b64 v[2:3], v15, s[4:5]
	ds_load_b64 v[6:7], v15 offset:16384
	s_mov_b32 s15, 0
	s_wait_loadcnt_dscnt 0x0
	v_dual_mul_f32 v4, v2, v7 :: v_dual_mul_f32 v5, v2, v6
	v_xor_b32_e32 v16, 0x80000000, v3
	s_delay_alu instid0(VALU_DEP_2) | instskip(NEXT) | instid1(VALU_DEP_3)
	v_xor_b32_e32 v2, 0x80000000, v4
	v_xor_b32_e32 v4, 0x80000000, v5
	s_delay_alu instid0(VALU_DEP_1) | instskip(SKIP_1) | instid1(VALU_DEP_2)
	v_dual_fmac_f32 v2, v6, v16 :: v_dual_fmac_f32 v4, v3, v7
	v_dual_mov_b32 v6, v1 :: v_dual_mov_b32 v7, v9
	v_dual_mov_b32 v16, v0 :: v_dual_mov_b32 v3, v2
	s_delay_alu instid0(VALU_DEP_3)
	v_mov_b32_e32 v5, v4
.LBB17_22:                              ;   Parent Loop BB17_6 Depth=1
                                        ; =>  This Inner Loop Header: Depth=2
	flat_load_b64 v[18:19], v7, s[6:7] scale_offset
	ds_load_b64 v[20:21], v6
	v_add_nc_u32_e32 v6, 0x800, v6
	v_add_nc_u32_e32 v16, 0x100, v16
	s_delay_alu instid0(VALU_DEP_1) | instskip(SKIP_3) | instid1(VALU_DEP_1)
	v_cmp_le_i32_e32 vcc_lo, s13, v16
	s_or_b32 s15, vcc_lo, s15
	s_wait_dscnt 0x0
	v_pk_mul_f32 v[22:23], v[4:5], v[20:21]
	v_pk_fma_f32 v[24:25], v[2:3], v[20:21], v[22:23] op_sel:[0,1,0] op_sel_hi:[1,0,1] neg_lo:[0,0,1] neg_hi:[0,0,1]
	v_pk_fma_f32 v[20:21], v[2:3], v[20:21], v[22:23] op_sel:[0,1,0] op_sel_hi:[1,0,1]
	s_delay_alu instid0(VALU_DEP_2) | instskip(SKIP_1) | instid1(VALU_DEP_1)
	v_mov_b32_e32 v21, v25
	s_wait_loadcnt 0x0
	v_pk_add_f32 v[18:19], v[18:19], v[20:21]
	flat_store_b64 v7, v[18:19], s[6:7] scale_offset
	s_wait_xcnt 0x0
	v_add_nc_u32_e32 v7, s14, v7
	s_and_not1_b32 exec_lo, exec_lo, s15
	s_cbranch_execnz .LBB17_22
	s_branch .LBB17_5
.LBB17_23:
	s_endpgm
	.section	.rodata,"a",@progbits
	.p2align	6, 0x0
	.amdhsa_kernel _ZN9rocsolver6v33100L23larf_right_kernel_smallILi256E19rocblas_complex_numIfEiPKPS3_EEvT1_S7_T2_lS7_lPKT0_lS8_lS7_l
		.amdhsa_group_segment_fixed_size 16448
		.amdhsa_private_segment_fixed_size 0
		.amdhsa_kernarg_size 88
		.amdhsa_user_sgpr_count 2
		.amdhsa_user_sgpr_dispatch_ptr 0
		.amdhsa_user_sgpr_queue_ptr 0
		.amdhsa_user_sgpr_kernarg_segment_ptr 1
		.amdhsa_user_sgpr_dispatch_id 0
		.amdhsa_user_sgpr_kernarg_preload_length 0
		.amdhsa_user_sgpr_kernarg_preload_offset 0
		.amdhsa_user_sgpr_private_segment_size 0
		.amdhsa_wavefront_size32 1
		.amdhsa_uses_dynamic_stack 0
		.amdhsa_enable_private_segment 0
		.amdhsa_system_sgpr_workgroup_id_x 1
		.amdhsa_system_sgpr_workgroup_id_y 1
		.amdhsa_system_sgpr_workgroup_id_z 0
		.amdhsa_system_sgpr_workgroup_info 0
		.amdhsa_system_vgpr_workitem_id 0
		.amdhsa_next_free_vgpr 26
		.amdhsa_next_free_sgpr 28
		.amdhsa_named_barrier_count 0
		.amdhsa_reserve_vcc 1
		.amdhsa_float_round_mode_32 0
		.amdhsa_float_round_mode_16_64 0
		.amdhsa_float_denorm_mode_32 3
		.amdhsa_float_denorm_mode_16_64 3
		.amdhsa_fp16_overflow 0
		.amdhsa_memory_ordered 1
		.amdhsa_forward_progress 1
		.amdhsa_inst_pref_size 11
		.amdhsa_round_robin_scheduling 0
		.amdhsa_exception_fp_ieee_invalid_op 0
		.amdhsa_exception_fp_denorm_src 0
		.amdhsa_exception_fp_ieee_div_zero 0
		.amdhsa_exception_fp_ieee_overflow 0
		.amdhsa_exception_fp_ieee_underflow 0
		.amdhsa_exception_fp_ieee_inexact 0
		.amdhsa_exception_int_div_zero 0
	.end_amdhsa_kernel
	.section	.text._ZN9rocsolver6v33100L23larf_right_kernel_smallILi256E19rocblas_complex_numIfEiPKPS3_EEvT1_S7_T2_lS7_lPKT0_lS8_lS7_l,"axG",@progbits,_ZN9rocsolver6v33100L23larf_right_kernel_smallILi256E19rocblas_complex_numIfEiPKPS3_EEvT1_S7_T2_lS7_lPKT0_lS8_lS7_l,comdat
.Lfunc_end17:
	.size	_ZN9rocsolver6v33100L23larf_right_kernel_smallILi256E19rocblas_complex_numIfEiPKPS3_EEvT1_S7_T2_lS7_lPKT0_lS8_lS7_l, .Lfunc_end17-_ZN9rocsolver6v33100L23larf_right_kernel_smallILi256E19rocblas_complex_numIfEiPKPS3_EEvT1_S7_T2_lS7_lPKT0_lS8_lS7_l
                                        ; -- End function
	.set _ZN9rocsolver6v33100L23larf_right_kernel_smallILi256E19rocblas_complex_numIfEiPKPS3_EEvT1_S7_T2_lS7_lPKT0_lS8_lS7_l.num_vgpr, 26
	.set _ZN9rocsolver6v33100L23larf_right_kernel_smallILi256E19rocblas_complex_numIfEiPKPS3_EEvT1_S7_T2_lS7_lPKT0_lS8_lS7_l.num_agpr, 0
	.set _ZN9rocsolver6v33100L23larf_right_kernel_smallILi256E19rocblas_complex_numIfEiPKPS3_EEvT1_S7_T2_lS7_lPKT0_lS8_lS7_l.numbered_sgpr, 28
	.set _ZN9rocsolver6v33100L23larf_right_kernel_smallILi256E19rocblas_complex_numIfEiPKPS3_EEvT1_S7_T2_lS7_lPKT0_lS8_lS7_l.num_named_barrier, 0
	.set _ZN9rocsolver6v33100L23larf_right_kernel_smallILi256E19rocblas_complex_numIfEiPKPS3_EEvT1_S7_T2_lS7_lPKT0_lS8_lS7_l.private_seg_size, 0
	.set _ZN9rocsolver6v33100L23larf_right_kernel_smallILi256E19rocblas_complex_numIfEiPKPS3_EEvT1_S7_T2_lS7_lPKT0_lS8_lS7_l.uses_vcc, 1
	.set _ZN9rocsolver6v33100L23larf_right_kernel_smallILi256E19rocblas_complex_numIfEiPKPS3_EEvT1_S7_T2_lS7_lPKT0_lS8_lS7_l.uses_flat_scratch, 0
	.set _ZN9rocsolver6v33100L23larf_right_kernel_smallILi256E19rocblas_complex_numIfEiPKPS3_EEvT1_S7_T2_lS7_lPKT0_lS8_lS7_l.has_dyn_sized_stack, 0
	.set _ZN9rocsolver6v33100L23larf_right_kernel_smallILi256E19rocblas_complex_numIfEiPKPS3_EEvT1_S7_T2_lS7_lPKT0_lS8_lS7_l.has_recursion, 0
	.set _ZN9rocsolver6v33100L23larf_right_kernel_smallILi256E19rocblas_complex_numIfEiPKPS3_EEvT1_S7_T2_lS7_lPKT0_lS8_lS7_l.has_indirect_call, 0
	.section	.AMDGPU.csdata,"",@progbits
; Kernel info:
; codeLenInByte = 1408
; TotalNumSgprs: 30
; NumVgprs: 26
; ScratchSize: 0
; MemoryBound: 0
; FloatMode: 240
; IeeeMode: 1
; LDSByteSize: 16448 bytes/workgroup (compile time only)
; SGPRBlocks: 0
; VGPRBlocks: 1
; NumSGPRsForWavesPerEU: 30
; NumVGPRsForWavesPerEU: 26
; NamedBarCnt: 0
; Occupancy: 16
; WaveLimiterHint : 1
; COMPUTE_PGM_RSRC2:SCRATCH_EN: 0
; COMPUTE_PGM_RSRC2:USER_SGPR: 2
; COMPUTE_PGM_RSRC2:TRAP_HANDLER: 0
; COMPUTE_PGM_RSRC2:TGID_X_EN: 1
; COMPUTE_PGM_RSRC2:TGID_Y_EN: 1
; COMPUTE_PGM_RSRC2:TGID_Z_EN: 0
; COMPUTE_PGM_RSRC2:TIDIG_COMP_CNT: 0
	.section	.text._ZN9rocsolver6v33100L23larf_right_kernel_smallILi512E19rocblas_complex_numIfEiPKPS3_EEvT1_S7_T2_lS7_lPKT0_lS8_lS7_l,"axG",@progbits,_ZN9rocsolver6v33100L23larf_right_kernel_smallILi512E19rocblas_complex_numIfEiPKPS3_EEvT1_S7_T2_lS7_lPKT0_lS8_lS7_l,comdat
	.globl	_ZN9rocsolver6v33100L23larf_right_kernel_smallILi512E19rocblas_complex_numIfEiPKPS3_EEvT1_S7_T2_lS7_lPKT0_lS8_lS7_l ; -- Begin function _ZN9rocsolver6v33100L23larf_right_kernel_smallILi512E19rocblas_complex_numIfEiPKPS3_EEvT1_S7_T2_lS7_lPKT0_lS8_lS7_l
	.p2align	8
	.type	_ZN9rocsolver6v33100L23larf_right_kernel_smallILi512E19rocblas_complex_numIfEiPKPS3_EEvT1_S7_T2_lS7_lPKT0_lS8_lS7_l,@function
_ZN9rocsolver6v33100L23larf_right_kernel_smallILi512E19rocblas_complex_numIfEiPKPS3_EEvT1_S7_T2_lS7_lPKT0_lS8_lS7_l: ; @_ZN9rocsolver6v33100L23larf_right_kernel_smallILi512E19rocblas_complex_numIfEiPKPS3_EEvT1_S7_T2_lS7_lPKT0_lS8_lS7_l
; %bb.0:
	s_load_b256 s[4:11], s[0:1], 0x28
	s_bfe_u32 s2, ttmp6, 0x4000c
	s_and_b32 s12, ttmp6, 15
	s_add_co_i32 s2, s2, 1
	s_getreg_b32 s3, hwreg(HW_REG_IB_STS2, 6, 4)
	s_mul_i32 s2, ttmp9, s2
	v_lshlrev_b32_e32 v1, 3, v0
	s_add_co_i32 s12, s12, s2
	s_cmp_eq_u32 s3, 0
	s_mov_b32 s21, 0
	s_cselect_b32 s16, ttmp9, s12
	s_load_b64 s[12:13], s[0:1], 0x0
	s_ashr_i32 s17, s16, 31
	s_delay_alu instid0(SALU_CYCLE_1)
	s_lshl_b64 s[18:19], s[16:17], 3
	s_wait_kmcnt 0x0
	s_add_nc_u64 s[8:9], s[8:9], s[18:19]
	s_load_b64 s[14:15], s[8:9], 0x0
	v_cmp_gt_i32_e64 s2, s13, v0
	s_and_saveexec_b32 s20, s2
	s_cbranch_execz .LBB18_3
; %bb.1:
	s_clause 0x1
	s_load_b128 s[24:27], s[0:1], 0x8
	s_load_b32 s22, s[0:1], 0x18
	s_sub_co_i32 s23, 1, s13
	v_dual_mov_b32 v4, v0 :: v_dual_lshlrev_b32 v3, 3, v0
	s_wait_kmcnt 0x0
	s_add_nc_u64 s[8:9], s[24:25], s[18:19]
	s_lshl_b64 s[18:19], s[26:27], 3
	s_load_b64 s[8:9], s[8:9], 0x0
	s_mul_i32 s23, s22, s23
	s_cmp_lt_i32 s22, 1
	s_cselect_b32 s23, s23, 0
	s_delay_alu instid0(SALU_CYCLE_1)
	v_mad_u32 v2, v0, s22, s23
	s_wait_kmcnt 0x0
	s_add_nc_u64 s[8:9], s[8:9], s[18:19]
	s_lshl_b32 s18, s22, 9
.LBB18_2:                               ; =>This Inner Loop Header: Depth=1
	flat_load_b64 v[6:7], v2, s[8:9] scale_offset
	v_add_nc_u32_e32 v4, 0x200, v4
	s_wait_xcnt 0x0
	v_add_nc_u32_e32 v2, s18, v2
	s_delay_alu instid0(VALU_DEP_2)
	v_cmp_le_i32_e32 vcc_lo, s13, v4
	s_or_b32 s21, vcc_lo, s21
	s_wait_loadcnt_dscnt 0x0
	ds_store_b64 v3, v[6:7]
	v_add_nc_u32_e32 v3, 0x1000, v3
	s_and_not1_b32 exec_lo, exec_lo, s21
	s_cbranch_execnz .LBB18_2
.LBB18_3:
	s_or_b32 exec_lo, exec_lo, s20
	s_wait_xcnt 0x0
	s_bfe_u32 s8, ttmp6, 0x40010
	s_bfe_u32 s9, ttmp6, 0x40004
	s_add_co_i32 s8, s8, 1
	s_wait_dscnt 0x0
	s_mul_i32 s8, ttmp7, s8
	s_barrier_signal -1
	s_add_co_i32 s9, s9, s8
	s_cmp_eq_u32 s3, 0
	s_barrier_wait -1
	s_cselect_b32 s8, ttmp7, s9
	s_delay_alu instid0(SALU_CYCLE_1)
	s_cmp_ge_i32 s8, s12
	s_cbranch_scc1 .LBB18_23
; %bb.4:
	s_load_b32 s9, s[0:1], 0x48
	v_dual_lshrrev_b32 v3, 2, v0 :: v_dual_bitop2_b32 v2, 31, v0 bitop3:0x40
	v_mbcnt_lo_u32_b32 v8, -1, 0
	s_lshl_b64 s[10:11], s[10:11], 3
	s_mul_u64 s[16:17], s[6:7], s[16:17]
	s_wait_xcnt 0x0
	v_cmp_eq_u32_e64 s0, 0, v0
	v_mov_b32_e32 v9, 0x4008
	s_wait_kmcnt 0x0
	s_add_nc_u64 s[6:7], s[14:15], s[10:11]
	s_lshl_b64 s[10:11], s[16:17], 3
	v_cmp_eq_u32_e64 s1, 0, v2
	v_lshl_or_b32 v10, v8, 2, 64
	v_or_b32_e32 v11, 0x4000, v3
	v_mov_b32_e32 v13, 0x4018
	v_dual_mov_b32 v14, 0x4028 :: v_dual_mov_b32 v19, 0
	v_mov_b32_e32 v15, 0x4038
	v_mov_b32_e32 v16, 0x4048
	;; [unrolled: 1-line block ×4, first 2 shown]
	v_mul_lo_u32 v12, v0, s9
	s_cmp_gt_i32 s13, 1
	s_add_nc_u64 s[4:5], s[4:5], s[10:11]
	s_cselect_b32 s3, -1, 0
	s_lshl_b32 s14, s9, 9
	s_branch .LBB18_6
.LBB18_5:                               ;   in Loop: Header=BB18_6 Depth=1
	s_or_b32 exec_lo, exec_lo, s9
	s_add_co_i32 s8, s8, 64
	s_delay_alu instid0(SALU_CYCLE_1)
	s_cmp_ge_i32 s8, s12
	s_cbranch_scc1 .LBB18_23
.LBB18_6:                               ; =>This Loop Header: Depth=1
                                        ;     Child Loop BB18_8 Depth 2
                                        ;     Child Loop BB18_22 Depth 2
	v_mov_b64_e32 v[2:3], 0
	s_ashr_i32 s9, s8, 31
	s_delay_alu instid0(SALU_CYCLE_1) | instskip(NEXT) | instid1(SALU_CYCLE_1)
	s_lshl_b64 s[10:11], s[8:9], 3
	s_add_nc_u64 s[10:11], s[6:7], s[10:11]
	s_and_saveexec_b32 s9, s2
	s_cbranch_execz .LBB18_10
; %bb.7:                                ;   in Loop: Header=BB18_6 Depth=1
	v_dual_mov_b32 v2, 0 :: v_dual_mov_b32 v4, v12
	v_dual_mov_b32 v5, v1 :: v_dual_mov_b32 v6, v0
	s_mov_b32 s15, 0
	s_delay_alu instid0(VALU_DEP_2)
	v_mov_b32_e32 v3, v2
.LBB18_8:                               ;   Parent Loop BB18_6 Depth=1
                                        ; =>  This Inner Loop Header: Depth=2
	flat_load_b64 v[20:21], v4, s[10:11] scale_offset
	ds_load_b64 v[22:23], v5
	v_add_nc_u32_e32 v5, 0x1000, v5
	s_wait_xcnt 0x0
	v_add_nc_u32_e32 v4, s14, v4
	s_wait_loadcnt_dscnt 0x0
	v_pk_mul_f32 v[24:25], v[20:21], v[22:23] op_sel:[1,1] op_sel_hi:[0,1]
	s_delay_alu instid0(VALU_DEP_1) | instskip(SKIP_2) | instid1(VALU_DEP_3)
	v_pk_fma_f32 v[26:27], v[20:21], v[22:23], v[24:25] op_sel_hi:[1,0,1]
	v_add_nc_u32_e32 v6, 0x200, v6
	v_pk_fma_f32 v[20:21], v[20:21], v[22:23], v[24:25] neg_lo:[0,0,1] neg_hi:[0,0,1]
	v_mov_b32_e32 v21, v27
	s_delay_alu instid0(VALU_DEP_3) | instskip(NEXT) | instid1(VALU_DEP_2)
	v_cmp_le_i32_e32 vcc_lo, s13, v6
	v_pk_add_f32 v[2:3], v[2:3], v[20:21]
	s_or_b32 s15, vcc_lo, s15
	s_delay_alu instid0(SALU_CYCLE_1)
	s_and_not1_b32 exec_lo, exec_lo, s15
	s_cbranch_execnz .LBB18_8
; %bb.9:                                ;   in Loop: Header=BB18_6 Depth=1
	s_or_b32 exec_lo, exec_lo, s15
.LBB18_10:                              ;   in Loop: Header=BB18_6 Depth=1
	s_delay_alu instid0(SALU_CYCLE_1) | instskip(NEXT) | instid1(SALU_CYCLE_1)
	s_or_b32 exec_lo, exec_lo, s9
	s_and_b32 vcc_lo, exec_lo, s3
	s_cbranch_vccz .LBB18_17
; %bb.11:                               ;   in Loop: Header=BB18_6 Depth=1
	v_cmp_ne_u32_e32 vcc_lo, 31, v8
	v_add_co_ci_u32_e64 v4, null, 0, v8, vcc_lo
	v_cmp_gt_u32_e32 vcc_lo, 30, v8
	s_delay_alu instid0(VALU_DEP_2)
	v_lshlrev_b32_e32 v5, 2, v4
	v_cndmask_b32_e64 v6, 0, 2, vcc_lo
	v_cmp_gt_u32_e32 vcc_lo, 28, v8
	ds_bpermute_b32 v4, v5, v2
	ds_bpermute_b32 v5, v5, v3
	v_add_lshl_u32 v7, v6, v8, 2
	v_cndmask_b32_e64 v20, 0, 4, vcc_lo
	v_cmp_gt_u32_e32 vcc_lo, 24, v8
	s_delay_alu instid0(VALU_DEP_2)
	v_add_lshl_u32 v20, v20, v8, 2
	s_wait_dscnt 0x0
	v_pk_add_f32 v[4:5], v[2:3], v[4:5]
	ds_bpermute_b32 v6, v7, v4
	ds_bpermute_b32 v7, v7, v5
	s_wait_dscnt 0x0
	v_pk_add_f32 v[4:5], v[4:5], v[6:7]
	ds_bpermute_b32 v6, v20, v4
	ds_bpermute_b32 v7, v20, v5
	v_cndmask_b32_e64 v20, 0, 8, vcc_lo
	s_delay_alu instid0(VALU_DEP_1)
	v_add_lshl_u32 v20, v20, v8, 2
	s_wait_dscnt 0x0
	v_pk_add_f32 v[4:5], v[4:5], v[6:7]
	ds_bpermute_b32 v6, v20, v4
	ds_bpermute_b32 v7, v20, v5
	s_wait_dscnt 0x0
	v_pk_add_f32 v[4:5], v[4:5], v[6:7]
	ds_bpermute_b32 v6, v10, v4
	ds_bpermute_b32 v7, v10, v5
	s_wait_dscnt 0x0
	v_pk_add_f32 v[4:5], v[4:5], v[6:7]
	s_and_saveexec_b32 s9, s1
; %bb.12:                               ;   in Loop: Header=BB18_6 Depth=1
	ds_store_2addr_b32 v11, v4, v5 offset1:1
; %bb.13:                               ;   in Loop: Header=BB18_6 Depth=1
	s_or_b32 exec_lo, exec_lo, s9
	s_mov_b32 s15, 0
	s_mov_b32 s9, 0
	s_wait_dscnt 0x0
	s_barrier_signal -1
	s_barrier_wait -1
                                        ; implicit-def: $vgpr6_vgpr7
	s_and_saveexec_b32 s16, s0
	s_delay_alu instid0(SALU_CYCLE_1)
	s_xor_b32 s16, exec_lo, s16
	s_cbranch_execz .LBB18_15
; %bb.14:                               ;   in Loop: Header=BB18_6 Depth=1
	ds_load_2addr_b64 v[20:23], v9 offset1:1
	ds_load_2addr_b64 v[24:27], v13 offset1:1
	;; [unrolled: 1-line block ×3, first 2 shown]
	s_mov_b32 s9, exec_lo
	s_wait_dscnt 0x2
	v_pk_add_f32 v[4:5], v[4:5], v[20:21]
	s_delay_alu instid0(VALU_DEP_1) | instskip(SKIP_3) | instid1(VALU_DEP_1)
	v_pk_add_f32 v[20:21], v[4:5], v[22:23]
	ds_load_2addr_b64 v[4:7], v15 offset1:1
	s_wait_dscnt 0x2
	v_pk_add_f32 v[20:21], v[20:21], v[24:25]
	v_pk_add_f32 v[24:25], v[20:21], v[26:27]
	ds_load_2addr_b64 v[20:23], v16 offset1:1
	s_wait_dscnt 0x2
	v_pk_add_f32 v[24:25], v[24:25], v[28:29]
	s_delay_alu instid0(VALU_DEP_1) | instskip(SKIP_3) | instid1(VALU_DEP_1)
	v_pk_add_f32 v[28:29], v[24:25], v[30:31]
	ds_load_2addr_b64 v[24:27], v17 offset1:1
	s_wait_dscnt 0x2
	v_pk_add_f32 v[4:5], v[28:29], v[4:5]
	v_pk_add_f32 v[4:5], v[4:5], v[6:7]
	s_wait_dscnt 0x1
	s_delay_alu instid0(VALU_DEP_1)
	v_pk_add_f32 v[20:21], v[4:5], v[20:21]
	ds_load_2addr_b64 v[4:7], v18 offset1:1
	v_pk_add_f32 v[20:21], v[20:21], v[22:23]
	ds_load_b64 v[22:23], v19 offset:16504
	s_wait_dscnt 0x2
	v_pk_add_f32 v[20:21], v[20:21], v[24:25]
	s_delay_alu instid0(VALU_DEP_1) | instskip(SKIP_1) | instid1(VALU_DEP_1)
	v_pk_add_f32 v[20:21], v[20:21], v[26:27]
	s_wait_dscnt 0x1
	v_pk_add_f32 v[4:5], v[20:21], v[4:5]
	s_delay_alu instid0(VALU_DEP_1) | instskip(SKIP_1) | instid1(VALU_DEP_1)
	v_pk_add_f32 v[4:5], v[4:5], v[6:7]
	s_wait_dscnt 0x0
	v_pk_add_f32 v[6:7], v[4:5], v[22:23]
.LBB18_15:                              ;   in Loop: Header=BB18_6 Depth=1
	s_or_b32 exec_lo, exec_lo, s16
	s_delay_alu instid0(SALU_CYCLE_1)
	s_and_b32 vcc_lo, exec_lo, s15
	s_cbranch_vccnz .LBB18_18
.LBB18_16:                              ;   in Loop: Header=BB18_6 Depth=1
	s_delay_alu instid0(VALU_DEP_1)
	v_mov_b64_e32 v[2:3], v[6:7]
	s_and_saveexec_b32 s15, s9
	s_cbranch_execnz .LBB18_19
	s_branch .LBB18_20
.LBB18_17:                              ;   in Loop: Header=BB18_6 Depth=1
	s_mov_b32 s9, 0
                                        ; implicit-def: $vgpr6_vgpr7
	s_cbranch_execz .LBB18_16
.LBB18_18:                              ;   in Loop: Header=BB18_6 Depth=1
	s_and_not1_b32 s9, s9, exec_lo
	s_and_b32 s15, s0, exec_lo
	s_delay_alu instid0(SALU_CYCLE_1) | instskip(NEXT) | instid1(SALU_CYCLE_1)
	s_or_b32 s9, s9, s15
	s_and_saveexec_b32 s15, s9
.LBB18_19:                              ;   in Loop: Header=BB18_6 Depth=1
	ds_store_b64 v19, v[2:3] offset:16384
.LBB18_20:                              ;   in Loop: Header=BB18_6 Depth=1
	s_or_b32 exec_lo, exec_lo, s15
	s_wait_dscnt 0x0
	s_barrier_signal -1
	s_barrier_wait -1
	s_and_saveexec_b32 s9, s2
	s_cbranch_execz .LBB18_5
; %bb.21:                               ;   in Loop: Header=BB18_6 Depth=1
	global_load_b64 v[2:3], v19, s[4:5]
	ds_load_b64 v[6:7], v19 offset:16384
	s_mov_b32 s15, 0
	s_wait_loadcnt_dscnt 0x0
	v_dual_mul_f32 v4, v2, v7 :: v_dual_mul_f32 v5, v2, v6
	v_xor_b32_e32 v20, 0x80000000, v3
	s_delay_alu instid0(VALU_DEP_2) | instskip(NEXT) | instid1(VALU_DEP_3)
	v_xor_b32_e32 v2, 0x80000000, v4
	v_xor_b32_e32 v4, 0x80000000, v5
	s_delay_alu instid0(VALU_DEP_1) | instskip(SKIP_1) | instid1(VALU_DEP_2)
	v_dual_fmac_f32 v2, v6, v20 :: v_dual_fmac_f32 v4, v3, v7
	v_dual_mov_b32 v6, v1 :: v_dual_mov_b32 v7, v12
	v_dual_mov_b32 v20, v0 :: v_dual_mov_b32 v3, v2
	s_delay_alu instid0(VALU_DEP_3)
	v_mov_b32_e32 v5, v4
.LBB18_22:                              ;   Parent Loop BB18_6 Depth=1
                                        ; =>  This Inner Loop Header: Depth=2
	flat_load_b64 v[22:23], v7, s[10:11] scale_offset
	ds_load_b64 v[24:25], v6
	v_add_nc_u32_e32 v6, 0x1000, v6
	v_add_nc_u32_e32 v20, 0x200, v20
	s_delay_alu instid0(VALU_DEP_1) | instskip(SKIP_3) | instid1(VALU_DEP_1)
	v_cmp_le_i32_e32 vcc_lo, s13, v20
	s_or_b32 s15, vcc_lo, s15
	s_wait_dscnt 0x0
	v_pk_mul_f32 v[26:27], v[4:5], v[24:25]
	v_pk_fma_f32 v[28:29], v[2:3], v[24:25], v[26:27] op_sel:[0,1,0] op_sel_hi:[1,0,1] neg_lo:[0,0,1] neg_hi:[0,0,1]
	v_pk_fma_f32 v[24:25], v[2:3], v[24:25], v[26:27] op_sel:[0,1,0] op_sel_hi:[1,0,1]
	s_delay_alu instid0(VALU_DEP_2) | instskip(SKIP_1) | instid1(VALU_DEP_1)
	v_mov_b32_e32 v25, v29
	s_wait_loadcnt 0x0
	v_pk_add_f32 v[22:23], v[22:23], v[24:25]
	flat_store_b64 v7, v[22:23], s[10:11] scale_offset
	s_wait_xcnt 0x0
	v_add_nc_u32_e32 v7, s14, v7
	s_and_not1_b32 exec_lo, exec_lo, s15
	s_cbranch_execnz .LBB18_22
	s_branch .LBB18_5
.LBB18_23:
	s_endpgm
	.section	.rodata,"a",@progbits
	.p2align	6, 0x0
	.amdhsa_kernel _ZN9rocsolver6v33100L23larf_right_kernel_smallILi512E19rocblas_complex_numIfEiPKPS3_EEvT1_S7_T2_lS7_lPKT0_lS8_lS7_l
		.amdhsa_group_segment_fixed_size 16512
		.amdhsa_private_segment_fixed_size 0
		.amdhsa_kernarg_size 88
		.amdhsa_user_sgpr_count 2
		.amdhsa_user_sgpr_dispatch_ptr 0
		.amdhsa_user_sgpr_queue_ptr 0
		.amdhsa_user_sgpr_kernarg_segment_ptr 1
		.amdhsa_user_sgpr_dispatch_id 0
		.amdhsa_user_sgpr_kernarg_preload_length 0
		.amdhsa_user_sgpr_kernarg_preload_offset 0
		.amdhsa_user_sgpr_private_segment_size 0
		.amdhsa_wavefront_size32 1
		.amdhsa_uses_dynamic_stack 0
		.amdhsa_enable_private_segment 0
		.amdhsa_system_sgpr_workgroup_id_x 1
		.amdhsa_system_sgpr_workgroup_id_y 1
		.amdhsa_system_sgpr_workgroup_id_z 0
		.amdhsa_system_sgpr_workgroup_info 0
		.amdhsa_system_vgpr_workitem_id 0
		.amdhsa_next_free_vgpr 32
		.amdhsa_next_free_sgpr 28
		.amdhsa_named_barrier_count 0
		.amdhsa_reserve_vcc 1
		.amdhsa_float_round_mode_32 0
		.amdhsa_float_round_mode_16_64 0
		.amdhsa_float_denorm_mode_32 3
		.amdhsa_float_denorm_mode_16_64 3
		.amdhsa_fp16_overflow 0
		.amdhsa_memory_ordered 1
		.amdhsa_forward_progress 1
		.amdhsa_inst_pref_size 13
		.amdhsa_round_robin_scheduling 0
		.amdhsa_exception_fp_ieee_invalid_op 0
		.amdhsa_exception_fp_denorm_src 0
		.amdhsa_exception_fp_ieee_div_zero 0
		.amdhsa_exception_fp_ieee_overflow 0
		.amdhsa_exception_fp_ieee_underflow 0
		.amdhsa_exception_fp_ieee_inexact 0
		.amdhsa_exception_int_div_zero 0
	.end_amdhsa_kernel
	.section	.text._ZN9rocsolver6v33100L23larf_right_kernel_smallILi512E19rocblas_complex_numIfEiPKPS3_EEvT1_S7_T2_lS7_lPKT0_lS8_lS7_l,"axG",@progbits,_ZN9rocsolver6v33100L23larf_right_kernel_smallILi512E19rocblas_complex_numIfEiPKPS3_EEvT1_S7_T2_lS7_lPKT0_lS8_lS7_l,comdat
.Lfunc_end18:
	.size	_ZN9rocsolver6v33100L23larf_right_kernel_smallILi512E19rocblas_complex_numIfEiPKPS3_EEvT1_S7_T2_lS7_lPKT0_lS8_lS7_l, .Lfunc_end18-_ZN9rocsolver6v33100L23larf_right_kernel_smallILi512E19rocblas_complex_numIfEiPKPS3_EEvT1_S7_T2_lS7_lPKT0_lS8_lS7_l
                                        ; -- End function
	.set _ZN9rocsolver6v33100L23larf_right_kernel_smallILi512E19rocblas_complex_numIfEiPKPS3_EEvT1_S7_T2_lS7_lPKT0_lS8_lS7_l.num_vgpr, 32
	.set _ZN9rocsolver6v33100L23larf_right_kernel_smallILi512E19rocblas_complex_numIfEiPKPS3_EEvT1_S7_T2_lS7_lPKT0_lS8_lS7_l.num_agpr, 0
	.set _ZN9rocsolver6v33100L23larf_right_kernel_smallILi512E19rocblas_complex_numIfEiPKPS3_EEvT1_S7_T2_lS7_lPKT0_lS8_lS7_l.numbered_sgpr, 28
	.set _ZN9rocsolver6v33100L23larf_right_kernel_smallILi512E19rocblas_complex_numIfEiPKPS3_EEvT1_S7_T2_lS7_lPKT0_lS8_lS7_l.num_named_barrier, 0
	.set _ZN9rocsolver6v33100L23larf_right_kernel_smallILi512E19rocblas_complex_numIfEiPKPS3_EEvT1_S7_T2_lS7_lPKT0_lS8_lS7_l.private_seg_size, 0
	.set _ZN9rocsolver6v33100L23larf_right_kernel_smallILi512E19rocblas_complex_numIfEiPKPS3_EEvT1_S7_T2_lS7_lPKT0_lS8_lS7_l.uses_vcc, 1
	.set _ZN9rocsolver6v33100L23larf_right_kernel_smallILi512E19rocblas_complex_numIfEiPKPS3_EEvT1_S7_T2_lS7_lPKT0_lS8_lS7_l.uses_flat_scratch, 0
	.set _ZN9rocsolver6v33100L23larf_right_kernel_smallILi512E19rocblas_complex_numIfEiPKPS3_EEvT1_S7_T2_lS7_lPKT0_lS8_lS7_l.has_dyn_sized_stack, 0
	.set _ZN9rocsolver6v33100L23larf_right_kernel_smallILi512E19rocblas_complex_numIfEiPKPS3_EEvT1_S7_T2_lS7_lPKT0_lS8_lS7_l.has_recursion, 0
	.set _ZN9rocsolver6v33100L23larf_right_kernel_smallILi512E19rocblas_complex_numIfEiPKPS3_EEvT1_S7_T2_lS7_lPKT0_lS8_lS7_l.has_indirect_call, 0
	.section	.AMDGPU.csdata,"",@progbits
; Kernel info:
; codeLenInByte = 1564
; TotalNumSgprs: 30
; NumVgprs: 32
; ScratchSize: 0
; MemoryBound: 0
; FloatMode: 240
; IeeeMode: 1
; LDSByteSize: 16512 bytes/workgroup (compile time only)
; SGPRBlocks: 0
; VGPRBlocks: 1
; NumSGPRsForWavesPerEU: 30
; NumVGPRsForWavesPerEU: 32
; NamedBarCnt: 0
; Occupancy: 16
; WaveLimiterHint : 1
; COMPUTE_PGM_RSRC2:SCRATCH_EN: 0
; COMPUTE_PGM_RSRC2:USER_SGPR: 2
; COMPUTE_PGM_RSRC2:TRAP_HANDLER: 0
; COMPUTE_PGM_RSRC2:TGID_X_EN: 1
; COMPUTE_PGM_RSRC2:TGID_Y_EN: 1
; COMPUTE_PGM_RSRC2:TGID_Z_EN: 0
; COMPUTE_PGM_RSRC2:TIDIG_COMP_CNT: 0
	.section	.text._ZN9rocsolver6v33100L23larf_right_kernel_smallILi1024E19rocblas_complex_numIfEiPKPS3_EEvT1_S7_T2_lS7_lPKT0_lS8_lS7_l,"axG",@progbits,_ZN9rocsolver6v33100L23larf_right_kernel_smallILi1024E19rocblas_complex_numIfEiPKPS3_EEvT1_S7_T2_lS7_lPKT0_lS8_lS7_l,comdat
	.globl	_ZN9rocsolver6v33100L23larf_right_kernel_smallILi1024E19rocblas_complex_numIfEiPKPS3_EEvT1_S7_T2_lS7_lPKT0_lS8_lS7_l ; -- Begin function _ZN9rocsolver6v33100L23larf_right_kernel_smallILi1024E19rocblas_complex_numIfEiPKPS3_EEvT1_S7_T2_lS7_lPKT0_lS8_lS7_l
	.p2align	8
	.type	_ZN9rocsolver6v33100L23larf_right_kernel_smallILi1024E19rocblas_complex_numIfEiPKPS3_EEvT1_S7_T2_lS7_lPKT0_lS8_lS7_l,@function
_ZN9rocsolver6v33100L23larf_right_kernel_smallILi1024E19rocblas_complex_numIfEiPKPS3_EEvT1_S7_T2_lS7_lPKT0_lS8_lS7_l: ; @_ZN9rocsolver6v33100L23larf_right_kernel_smallILi1024E19rocblas_complex_numIfEiPKPS3_EEvT1_S7_T2_lS7_lPKT0_lS8_lS7_l
; %bb.0:
	s_load_b256 s[4:11], s[0:1], 0x28
	s_bfe_u32 s2, ttmp6, 0x4000c
	s_and_b32 s12, ttmp6, 15
	s_add_co_i32 s2, s2, 1
	s_getreg_b32 s3, hwreg(HW_REG_IB_STS2, 6, 4)
	s_mul_i32 s2, ttmp9, s2
	v_lshlrev_b32_e32 v1, 3, v0
	s_add_co_i32 s12, s12, s2
	s_cmp_eq_u32 s3, 0
	s_mov_b32 s21, 0
	s_cselect_b32 s16, ttmp9, s12
	s_load_b64 s[12:13], s[0:1], 0x0
	s_ashr_i32 s17, s16, 31
	s_delay_alu instid0(SALU_CYCLE_1)
	s_lshl_b64 s[18:19], s[16:17], 3
	s_wait_kmcnt 0x0
	s_add_nc_u64 s[8:9], s[8:9], s[18:19]
	s_load_b64 s[14:15], s[8:9], 0x0
	v_cmp_gt_i32_e64 s2, s13, v0
	s_and_saveexec_b32 s20, s2
	s_cbranch_execz .LBB19_3
; %bb.1:
	s_clause 0x1
	s_load_b128 s[24:27], s[0:1], 0x8
	s_load_b32 s22, s[0:1], 0x18
	s_sub_co_i32 s23, 1, s13
	v_dual_mov_b32 v4, v0 :: v_dual_lshlrev_b32 v3, 3, v0
	s_wait_kmcnt 0x0
	s_add_nc_u64 s[8:9], s[24:25], s[18:19]
	s_lshl_b64 s[18:19], s[26:27], 3
	s_load_b64 s[8:9], s[8:9], 0x0
	s_mul_i32 s23, s22, s23
	s_cmp_lt_i32 s22, 1
	s_cselect_b32 s23, s23, 0
	s_delay_alu instid0(SALU_CYCLE_1)
	v_mad_u32 v2, v0, s22, s23
	s_wait_kmcnt 0x0
	s_add_nc_u64 s[8:9], s[8:9], s[18:19]
	s_lshl_b32 s18, s22, 10
.LBB19_2:                               ; =>This Inner Loop Header: Depth=1
	flat_load_b64 v[6:7], v2, s[8:9] scale_offset
	v_add_nc_u32_e32 v4, 0x400, v4
	s_wait_xcnt 0x0
	v_add_nc_u32_e32 v2, s18, v2
	s_delay_alu instid0(VALU_DEP_2)
	v_cmp_le_i32_e32 vcc_lo, s13, v4
	s_or_b32 s21, vcc_lo, s21
	s_wait_loadcnt_dscnt 0x0
	ds_store_b64 v3, v[6:7]
	v_add_nc_u32_e32 v3, 0x2000, v3
	s_and_not1_b32 exec_lo, exec_lo, s21
	s_cbranch_execnz .LBB19_2
.LBB19_3:
	s_or_b32 exec_lo, exec_lo, s20
	s_wait_xcnt 0x0
	s_bfe_u32 s8, ttmp6, 0x40010
	s_bfe_u32 s9, ttmp6, 0x40004
	s_add_co_i32 s8, s8, 1
	s_wait_dscnt 0x0
	s_mul_i32 s8, ttmp7, s8
	s_barrier_signal -1
	s_add_co_i32 s9, s9, s8
	s_cmp_eq_u32 s3, 0
	s_barrier_wait -1
	s_cselect_b32 s8, ttmp7, s9
	s_delay_alu instid0(SALU_CYCLE_1)
	s_cmp_ge_i32 s8, s12
	s_cbranch_scc1 .LBB19_23
; %bb.4:
	s_load_b32 s9, s[0:1], 0x48
	v_dual_lshrrev_b32 v3, 2, v0 :: v_dual_bitop2_b32 v2, 31, v0 bitop3:0x40
	v_mbcnt_lo_u32_b32 v8, -1, 0
	s_lshl_b64 s[10:11], s[10:11], 3
	s_mul_u64 s[16:17], s[6:7], s[16:17]
	s_wait_xcnt 0x0
	v_cmp_eq_u32_e64 s0, 0, v0
	v_mov_b32_e32 v9, 0x4008
	v_dual_mov_b32 v10, 0x4018 :: v_dual_mov_b32 v27, 0
	v_mov_b32_e32 v11, 0x4028
	v_mov_b32_e32 v12, 0x4038
	;; [unrolled: 1-line block ×5, first 2 shown]
	s_wait_kmcnt 0x0
	s_add_nc_u64 s[6:7], s[14:15], s[10:11]
	s_lshl_b64 s[10:11], s[16:17], 3
	v_cmp_eq_u32_e64 s1, 0, v2
	v_lshl_or_b32 v16, v8, 2, 64
	v_or_b32_e32 v17, 0x4000, v3
	v_mul_lo_u32 v18, v0, s9
	v_mov_b32_e32 v19, 0x4078
	v_mov_b32_e32 v20, 0x4088
	;; [unrolled: 1-line block ×8, first 2 shown]
	s_cmp_gt_i32 s13, 1
	s_add_nc_u64 s[4:5], s[4:5], s[10:11]
	s_cselect_b32 s3, -1, 0
	s_lshl_b32 s14, s9, 10
	s_branch .LBB19_6
.LBB19_5:                               ;   in Loop: Header=BB19_6 Depth=1
	s_or_b32 exec_lo, exec_lo, s9
	s_add_co_i32 s8, s8, 64
	s_delay_alu instid0(SALU_CYCLE_1)
	s_cmp_ge_i32 s8, s12
	s_cbranch_scc1 .LBB19_23
.LBB19_6:                               ; =>This Loop Header: Depth=1
                                        ;     Child Loop BB19_8 Depth 2
                                        ;     Child Loop BB19_22 Depth 2
	v_mov_b64_e32 v[2:3], 0
	s_ashr_i32 s9, s8, 31
	s_delay_alu instid0(SALU_CYCLE_1) | instskip(NEXT) | instid1(SALU_CYCLE_1)
	s_lshl_b64 s[10:11], s[8:9], 3
	s_add_nc_u64 s[10:11], s[6:7], s[10:11]
	s_and_saveexec_b32 s9, s2
	s_cbranch_execz .LBB19_10
; %bb.7:                                ;   in Loop: Header=BB19_6 Depth=1
	v_dual_mov_b32 v2, 0 :: v_dual_mov_b32 v4, v18
	v_dual_mov_b32 v5, v1 :: v_dual_mov_b32 v6, v0
	s_mov_b32 s15, 0
	s_delay_alu instid0(VALU_DEP_2)
	v_mov_b32_e32 v3, v2
.LBB19_8:                               ;   Parent Loop BB19_6 Depth=1
                                        ; =>  This Inner Loop Header: Depth=2
	flat_load_b64 v[28:29], v4, s[10:11] scale_offset
	ds_load_b64 v[30:31], v5
	v_add_nc_u32_e32 v5, 0x2000, v5
	s_wait_xcnt 0x0
	v_add_nc_u32_e32 v4, s14, v4
	s_wait_loadcnt_dscnt 0x0
	v_pk_mul_f32 v[32:33], v[28:29], v[30:31] op_sel:[1,1] op_sel_hi:[0,1]
	s_delay_alu instid0(VALU_DEP_1) | instskip(SKIP_2) | instid1(VALU_DEP_3)
	v_pk_fma_f32 v[34:35], v[28:29], v[30:31], v[32:33] op_sel_hi:[1,0,1]
	v_add_nc_u32_e32 v6, 0x400, v6
	v_pk_fma_f32 v[28:29], v[28:29], v[30:31], v[32:33] neg_lo:[0,0,1] neg_hi:[0,0,1]
	v_mov_b32_e32 v29, v35
	s_delay_alu instid0(VALU_DEP_3) | instskip(NEXT) | instid1(VALU_DEP_2)
	v_cmp_le_i32_e32 vcc_lo, s13, v6
	v_pk_add_f32 v[2:3], v[2:3], v[28:29]
	s_or_b32 s15, vcc_lo, s15
	s_delay_alu instid0(SALU_CYCLE_1)
	s_and_not1_b32 exec_lo, exec_lo, s15
	s_cbranch_execnz .LBB19_8
; %bb.9:                                ;   in Loop: Header=BB19_6 Depth=1
	s_or_b32 exec_lo, exec_lo, s15
.LBB19_10:                              ;   in Loop: Header=BB19_6 Depth=1
	s_delay_alu instid0(SALU_CYCLE_1) | instskip(NEXT) | instid1(SALU_CYCLE_1)
	s_or_b32 exec_lo, exec_lo, s9
	s_and_b32 vcc_lo, exec_lo, s3
	s_cbranch_vccz .LBB19_17
; %bb.11:                               ;   in Loop: Header=BB19_6 Depth=1
	v_cmp_ne_u32_e32 vcc_lo, 31, v8
	v_add_co_ci_u32_e64 v4, null, 0, v8, vcc_lo
	v_cmp_gt_u32_e32 vcc_lo, 30, v8
	s_delay_alu instid0(VALU_DEP_2)
	v_lshlrev_b32_e32 v5, 2, v4
	v_cndmask_b32_e64 v6, 0, 2, vcc_lo
	v_cmp_gt_u32_e32 vcc_lo, 28, v8
	ds_bpermute_b32 v4, v5, v2
	ds_bpermute_b32 v5, v5, v3
	v_add_lshl_u32 v7, v6, v8, 2
	v_cndmask_b32_e64 v28, 0, 4, vcc_lo
	v_cmp_gt_u32_e32 vcc_lo, 24, v8
	s_delay_alu instid0(VALU_DEP_2)
	v_add_lshl_u32 v28, v28, v8, 2
	s_wait_dscnt 0x0
	v_pk_add_f32 v[4:5], v[2:3], v[4:5]
	ds_bpermute_b32 v6, v7, v4
	ds_bpermute_b32 v7, v7, v5
	s_wait_dscnt 0x0
	v_pk_add_f32 v[4:5], v[4:5], v[6:7]
	ds_bpermute_b32 v6, v28, v4
	ds_bpermute_b32 v7, v28, v5
	v_cndmask_b32_e64 v28, 0, 8, vcc_lo
	s_delay_alu instid0(VALU_DEP_1)
	v_add_lshl_u32 v28, v28, v8, 2
	s_wait_dscnt 0x0
	v_pk_add_f32 v[4:5], v[4:5], v[6:7]
	ds_bpermute_b32 v6, v28, v4
	ds_bpermute_b32 v7, v28, v5
	s_wait_dscnt 0x0
	v_pk_add_f32 v[4:5], v[4:5], v[6:7]
	ds_bpermute_b32 v6, v16, v4
	ds_bpermute_b32 v7, v16, v5
	s_wait_dscnt 0x0
	v_pk_add_f32 v[4:5], v[4:5], v[6:7]
	s_and_saveexec_b32 s9, s1
; %bb.12:                               ;   in Loop: Header=BB19_6 Depth=1
	ds_store_2addr_b32 v17, v4, v5 offset1:1
; %bb.13:                               ;   in Loop: Header=BB19_6 Depth=1
	s_or_b32 exec_lo, exec_lo, s9
	s_mov_b32 s15, 0
	s_mov_b32 s9, 0
	s_wait_dscnt 0x0
	s_barrier_signal -1
	s_barrier_wait -1
                                        ; implicit-def: $vgpr6_vgpr7
	s_and_saveexec_b32 s16, s0
	s_delay_alu instid0(SALU_CYCLE_1)
	s_xor_b32 s16, exec_lo, s16
	s_cbranch_execz .LBB19_15
; %bb.14:                               ;   in Loop: Header=BB19_6 Depth=1
	ds_load_2addr_b64 v[28:31], v9 offset1:1
	ds_load_2addr_b64 v[32:35], v10 offset1:1
	;; [unrolled: 1-line block ×3, first 2 shown]
	s_mov_b32 s9, exec_lo
	s_wait_dscnt 0x2
	v_pk_add_f32 v[4:5], v[4:5], v[28:29]
	s_delay_alu instid0(VALU_DEP_1) | instskip(SKIP_3) | instid1(VALU_DEP_1)
	v_pk_add_f32 v[28:29], v[4:5], v[30:31]
	ds_load_2addr_b64 v[4:7], v12 offset1:1
	s_wait_dscnt 0x2
	v_pk_add_f32 v[28:29], v[28:29], v[32:33]
	v_pk_add_f32 v[32:33], v[28:29], v[34:35]
	ds_load_2addr_b64 v[28:31], v13 offset1:1
	s_wait_dscnt 0x2
	v_pk_add_f32 v[32:33], v[32:33], v[36:37]
	s_delay_alu instid0(VALU_DEP_1) | instskip(SKIP_3) | instid1(VALU_DEP_1)
	v_pk_add_f32 v[36:37], v[32:33], v[38:39]
	ds_load_2addr_b64 v[32:35], v14 offset1:1
	s_wait_dscnt 0x2
	v_pk_add_f32 v[4:5], v[36:37], v[4:5]
	v_pk_add_f32 v[36:37], v[4:5], v[6:7]
	ds_load_2addr_b64 v[4:7], v15 offset1:1
	;; [unrolled: 9-line block ×5, first 2 shown]
	s_wait_dscnt 0x2
	v_pk_add_f32 v[28:29], v[36:37], v[28:29]
	s_delay_alu instid0(VALU_DEP_1) | instskip(SKIP_3) | instid1(VALU_DEP_1)
	v_pk_add_f32 v[36:37], v[28:29], v[30:31]
	ds_load_2addr_b64 v[28:31], v25 offset1:1
	s_wait_dscnt 0x2
	v_pk_add_f32 v[32:33], v[36:37], v[32:33]
	v_pk_add_f32 v[32:33], v[32:33], v[34:35]
	s_wait_dscnt 0x1
	s_delay_alu instid0(VALU_DEP_1)
	v_pk_add_f32 v[4:5], v[32:33], v[4:5]
	ds_load_2addr_b64 v[32:35], v26 offset1:1
	v_pk_add_f32 v[4:5], v[4:5], v[6:7]
	ds_load_b64 v[6:7], v27 offset:16632
	s_wait_dscnt 0x2
	v_pk_add_f32 v[4:5], v[4:5], v[28:29]
	s_delay_alu instid0(VALU_DEP_1) | instskip(SKIP_1) | instid1(VALU_DEP_1)
	v_pk_add_f32 v[4:5], v[4:5], v[30:31]
	s_wait_dscnt 0x1
	v_pk_add_f32 v[4:5], v[4:5], v[32:33]
	s_delay_alu instid0(VALU_DEP_1) | instskip(SKIP_1) | instid1(VALU_DEP_1)
	v_pk_add_f32 v[4:5], v[4:5], v[34:35]
	s_wait_dscnt 0x0
	v_pk_add_f32 v[6:7], v[4:5], v[6:7]
.LBB19_15:                              ;   in Loop: Header=BB19_6 Depth=1
	s_or_b32 exec_lo, exec_lo, s16
	s_delay_alu instid0(SALU_CYCLE_1)
	s_and_b32 vcc_lo, exec_lo, s15
	s_cbranch_vccnz .LBB19_18
.LBB19_16:                              ;   in Loop: Header=BB19_6 Depth=1
	s_delay_alu instid0(VALU_DEP_1)
	v_mov_b64_e32 v[2:3], v[6:7]
	s_and_saveexec_b32 s15, s9
	s_cbranch_execnz .LBB19_19
	s_branch .LBB19_20
.LBB19_17:                              ;   in Loop: Header=BB19_6 Depth=1
	s_mov_b32 s9, 0
                                        ; implicit-def: $vgpr6_vgpr7
	s_cbranch_execz .LBB19_16
.LBB19_18:                              ;   in Loop: Header=BB19_6 Depth=1
	s_and_not1_b32 s9, s9, exec_lo
	s_and_b32 s15, s0, exec_lo
	s_delay_alu instid0(SALU_CYCLE_1) | instskip(NEXT) | instid1(SALU_CYCLE_1)
	s_or_b32 s9, s9, s15
	s_and_saveexec_b32 s15, s9
.LBB19_19:                              ;   in Loop: Header=BB19_6 Depth=1
	ds_store_b64 v27, v[2:3] offset:16384
.LBB19_20:                              ;   in Loop: Header=BB19_6 Depth=1
	s_or_b32 exec_lo, exec_lo, s15
	s_wait_dscnt 0x0
	s_barrier_signal -1
	s_barrier_wait -1
	s_and_saveexec_b32 s9, s2
	s_cbranch_execz .LBB19_5
; %bb.21:                               ;   in Loop: Header=BB19_6 Depth=1
	global_load_b64 v[2:3], v27, s[4:5]
	ds_load_b64 v[6:7], v27 offset:16384
	s_mov_b32 s15, 0
	s_wait_loadcnt_dscnt 0x0
	v_dual_mul_f32 v4, v2, v7 :: v_dual_mul_f32 v5, v2, v6
	v_xor_b32_e32 v28, 0x80000000, v3
	s_delay_alu instid0(VALU_DEP_2) | instskip(NEXT) | instid1(VALU_DEP_3)
	v_xor_b32_e32 v2, 0x80000000, v4
	v_xor_b32_e32 v4, 0x80000000, v5
	s_delay_alu instid0(VALU_DEP_1) | instskip(SKIP_1) | instid1(VALU_DEP_2)
	v_dual_fmac_f32 v2, v6, v28 :: v_dual_fmac_f32 v4, v3, v7
	v_dual_mov_b32 v6, v1 :: v_dual_mov_b32 v7, v18
	v_dual_mov_b32 v28, v0 :: v_dual_mov_b32 v3, v2
	s_delay_alu instid0(VALU_DEP_3)
	v_mov_b32_e32 v5, v4
.LBB19_22:                              ;   Parent Loop BB19_6 Depth=1
                                        ; =>  This Inner Loop Header: Depth=2
	flat_load_b64 v[30:31], v7, s[10:11] scale_offset
	ds_load_b64 v[32:33], v6
	v_add_nc_u32_e32 v6, 0x2000, v6
	v_add_nc_u32_e32 v28, 0x400, v28
	s_delay_alu instid0(VALU_DEP_1) | instskip(SKIP_3) | instid1(VALU_DEP_1)
	v_cmp_le_i32_e32 vcc_lo, s13, v28
	s_or_b32 s15, vcc_lo, s15
	s_wait_dscnt 0x0
	v_pk_mul_f32 v[34:35], v[4:5], v[32:33]
	v_pk_fma_f32 v[36:37], v[2:3], v[32:33], v[34:35] op_sel:[0,1,0] op_sel_hi:[1,0,1] neg_lo:[0,0,1] neg_hi:[0,0,1]
	v_pk_fma_f32 v[32:33], v[2:3], v[32:33], v[34:35] op_sel:[0,1,0] op_sel_hi:[1,0,1]
	s_delay_alu instid0(VALU_DEP_2) | instskip(SKIP_1) | instid1(VALU_DEP_1)
	v_mov_b32_e32 v33, v37
	s_wait_loadcnt 0x0
	v_pk_add_f32 v[30:31], v[30:31], v[32:33]
	flat_store_b64 v7, v[30:31], s[10:11] scale_offset
	s_wait_xcnt 0x0
	v_add_nc_u32_e32 v7, s14, v7
	s_and_not1_b32 exec_lo, exec_lo, s15
	s_cbranch_execnz .LBB19_22
	s_branch .LBB19_5
.LBB19_23:
	s_endpgm
	.section	.rodata,"a",@progbits
	.p2align	6, 0x0
	.amdhsa_kernel _ZN9rocsolver6v33100L23larf_right_kernel_smallILi1024E19rocblas_complex_numIfEiPKPS3_EEvT1_S7_T2_lS7_lPKT0_lS8_lS7_l
		.amdhsa_group_segment_fixed_size 16640
		.amdhsa_private_segment_fixed_size 0
		.amdhsa_kernarg_size 88
		.amdhsa_user_sgpr_count 2
		.amdhsa_user_sgpr_dispatch_ptr 0
		.amdhsa_user_sgpr_queue_ptr 0
		.amdhsa_user_sgpr_kernarg_segment_ptr 1
		.amdhsa_user_sgpr_dispatch_id 0
		.amdhsa_user_sgpr_kernarg_preload_length 0
		.amdhsa_user_sgpr_kernarg_preload_offset 0
		.amdhsa_user_sgpr_private_segment_size 0
		.amdhsa_wavefront_size32 1
		.amdhsa_uses_dynamic_stack 0
		.amdhsa_enable_private_segment 0
		.amdhsa_system_sgpr_workgroup_id_x 1
		.amdhsa_system_sgpr_workgroup_id_y 1
		.amdhsa_system_sgpr_workgroup_id_z 0
		.amdhsa_system_sgpr_workgroup_info 0
		.amdhsa_system_vgpr_workitem_id 0
		.amdhsa_next_free_vgpr 40
		.amdhsa_next_free_sgpr 28
		.amdhsa_named_barrier_count 0
		.amdhsa_reserve_vcc 1
		.amdhsa_float_round_mode_32 0
		.amdhsa_float_round_mode_16_64 0
		.amdhsa_float_denorm_mode_32 3
		.amdhsa_float_denorm_mode_16_64 3
		.amdhsa_fp16_overflow 0
		.amdhsa_memory_ordered 1
		.amdhsa_forward_progress 1
		.amdhsa_inst_pref_size 15
		.amdhsa_round_robin_scheduling 0
		.amdhsa_exception_fp_ieee_invalid_op 0
		.amdhsa_exception_fp_denorm_src 0
		.amdhsa_exception_fp_ieee_div_zero 0
		.amdhsa_exception_fp_ieee_overflow 0
		.amdhsa_exception_fp_ieee_underflow 0
		.amdhsa_exception_fp_ieee_inexact 0
		.amdhsa_exception_int_div_zero 0
	.end_amdhsa_kernel
	.section	.text._ZN9rocsolver6v33100L23larf_right_kernel_smallILi1024E19rocblas_complex_numIfEiPKPS3_EEvT1_S7_T2_lS7_lPKT0_lS8_lS7_l,"axG",@progbits,_ZN9rocsolver6v33100L23larf_right_kernel_smallILi1024E19rocblas_complex_numIfEiPKPS3_EEvT1_S7_T2_lS7_lPKT0_lS8_lS7_l,comdat
.Lfunc_end19:
	.size	_ZN9rocsolver6v33100L23larf_right_kernel_smallILi1024E19rocblas_complex_numIfEiPKPS3_EEvT1_S7_T2_lS7_lPKT0_lS8_lS7_l, .Lfunc_end19-_ZN9rocsolver6v33100L23larf_right_kernel_smallILi1024E19rocblas_complex_numIfEiPKPS3_EEvT1_S7_T2_lS7_lPKT0_lS8_lS7_l
                                        ; -- End function
	.set _ZN9rocsolver6v33100L23larf_right_kernel_smallILi1024E19rocblas_complex_numIfEiPKPS3_EEvT1_S7_T2_lS7_lPKT0_lS8_lS7_l.num_vgpr, 40
	.set _ZN9rocsolver6v33100L23larf_right_kernel_smallILi1024E19rocblas_complex_numIfEiPKPS3_EEvT1_S7_T2_lS7_lPKT0_lS8_lS7_l.num_agpr, 0
	.set _ZN9rocsolver6v33100L23larf_right_kernel_smallILi1024E19rocblas_complex_numIfEiPKPS3_EEvT1_S7_T2_lS7_lPKT0_lS8_lS7_l.numbered_sgpr, 28
	.set _ZN9rocsolver6v33100L23larf_right_kernel_smallILi1024E19rocblas_complex_numIfEiPKPS3_EEvT1_S7_T2_lS7_lPKT0_lS8_lS7_l.num_named_barrier, 0
	.set _ZN9rocsolver6v33100L23larf_right_kernel_smallILi1024E19rocblas_complex_numIfEiPKPS3_EEvT1_S7_T2_lS7_lPKT0_lS8_lS7_l.private_seg_size, 0
	.set _ZN9rocsolver6v33100L23larf_right_kernel_smallILi1024E19rocblas_complex_numIfEiPKPS3_EEvT1_S7_T2_lS7_lPKT0_lS8_lS7_l.uses_vcc, 1
	.set _ZN9rocsolver6v33100L23larf_right_kernel_smallILi1024E19rocblas_complex_numIfEiPKPS3_EEvT1_S7_T2_lS7_lPKT0_lS8_lS7_l.uses_flat_scratch, 0
	.set _ZN9rocsolver6v33100L23larf_right_kernel_smallILi1024E19rocblas_complex_numIfEiPKPS3_EEvT1_S7_T2_lS7_lPKT0_lS8_lS7_l.has_dyn_sized_stack, 0
	.set _ZN9rocsolver6v33100L23larf_right_kernel_smallILi1024E19rocblas_complex_numIfEiPKPS3_EEvT1_S7_T2_lS7_lPKT0_lS8_lS7_l.has_recursion, 0
	.set _ZN9rocsolver6v33100L23larf_right_kernel_smallILi1024E19rocblas_complex_numIfEiPKPS3_EEvT1_S7_T2_lS7_lPKT0_lS8_lS7_l.has_indirect_call, 0
	.section	.AMDGPU.csdata,"",@progbits
; Kernel info:
; codeLenInByte = 1868
; TotalNumSgprs: 30
; NumVgprs: 40
; ScratchSize: 0
; MemoryBound: 0
; FloatMode: 240
; IeeeMode: 1
; LDSByteSize: 16640 bytes/workgroup (compile time only)
; SGPRBlocks: 0
; VGPRBlocks: 2
; NumSGPRsForWavesPerEU: 30
; NumVGPRsForWavesPerEU: 40
; NamedBarCnt: 0
; Occupancy: 16
; WaveLimiterHint : 1
; COMPUTE_PGM_RSRC2:SCRATCH_EN: 0
; COMPUTE_PGM_RSRC2:USER_SGPR: 2
; COMPUTE_PGM_RSRC2:TRAP_HANDLER: 0
; COMPUTE_PGM_RSRC2:TGID_X_EN: 1
; COMPUTE_PGM_RSRC2:TGID_Y_EN: 1
; COMPUTE_PGM_RSRC2:TGID_Z_EN: 0
; COMPUTE_PGM_RSRC2:TIDIG_COMP_CNT: 0
	.section	.text._ZN9rocsolver6v33100L22larf_left_kernel_smallILi64E19rocblas_complex_numIfElPS3_EEvT1_S5_T2_lS5_lPKT0_lS6_lS5_l,"axG",@progbits,_ZN9rocsolver6v33100L22larf_left_kernel_smallILi64E19rocblas_complex_numIfElPS3_EEvT1_S5_T2_lS5_lPKT0_lS6_lS5_l,comdat
	.globl	_ZN9rocsolver6v33100L22larf_left_kernel_smallILi64E19rocblas_complex_numIfElPS3_EEvT1_S5_T2_lS5_lPKT0_lS6_lS5_l ; -- Begin function _ZN9rocsolver6v33100L22larf_left_kernel_smallILi64E19rocblas_complex_numIfElPS3_EEvT1_S5_T2_lS5_lPKT0_lS6_lS5_l
	.p2align	8
	.type	_ZN9rocsolver6v33100L22larf_left_kernel_smallILi64E19rocblas_complex_numIfElPS3_EEvT1_S5_T2_lS5_lPKT0_lS6_lS5_l,@function
_ZN9rocsolver6v33100L22larf_left_kernel_smallILi64E19rocblas_complex_numIfElPS3_EEvT1_S5_T2_lS5_lPKT0_lS6_lS5_l: ; @_ZN9rocsolver6v33100L22larf_left_kernel_smallILi64E19rocblas_complex_numIfElPS3_EEvT1_S5_T2_lS5_lPKT0_lS6_lS5_l
; %bb.0:
	s_load_b512 s[8:23], s[0:1], 0x0
	s_mov_b64 s[6:7], 0
	s_wait_kmcnt 0x0
	v_cmp_gt_i64_e64 s2, s[16:17], 0
	s_and_b32 vcc_lo, exec_lo, s2
	s_cbranch_vccnz .LBB20_2
; %bb.1:
	s_sub_nc_u64 s[2:3], 1, s[8:9]
	s_delay_alu instid0(SALU_CYCLE_1)
	s_mul_u64 s[6:7], s[16:17], s[2:3]
.LBB20_2:
	s_bfe_u32 s2, ttmp6, 0x4000c
	v_dual_mov_b32 v1, 0 :: v_dual_lshlrev_b32 v34, 3, v0
	s_add_co_i32 s2, s2, 1
	s_and_b32 s3, ttmp6, 15
	s_mul_i32 s4, ttmp9, s2
	s_delay_alu instid0(VALU_DEP_1)
	v_cmp_gt_i64_e64 s2, s[8:9], v[0:1]
	s_add_co_i32 s4, s3, s4
	s_getreg_b32 s3, hwreg(HW_REG_IB_STS2, 6, 4)
	s_mov_b32 s5, 0
	s_cmp_eq_u32 s3, 0
	s_cselect_b32 s4, ttmp9, s4
	s_and_saveexec_b32 s24, s2
	s_cbranch_execz .LBB20_5
; %bb.3:
	v_mul_u64_e32 v[2:3], s[16:17], v[0:1]
	s_lshl_b64 s[14:15], s[14:15], 3
	s_mul_u64 s[18:19], s[18:19], s[4:5]
	s_lshl_b64 s[6:7], s[6:7], 3
	s_add_nc_u64 s[12:13], s[12:13], s[14:15]
	s_lshl_b64 s[14:15], s[18:19], 3
	s_add_nc_u64 s[6:7], s[12:13], s[6:7]
	v_mov_b64_e32 v[4:5], v[0:1]
	s_add_nc_u64 s[6:7], s[6:7], s[14:15]
	v_lshlrev_b32_e32 v6, 3, v0
	s_mov_b32 s12, s5
	s_delay_alu instid0(VALU_DEP_3)
	v_lshl_add_u64 v[2:3], v[2:3], 3, s[6:7]
	s_lshl_b64 s[6:7], s[16:17], 9
.LBB20_4:                               ; =>This Inner Loop Header: Depth=1
	global_load_b64 v[8:9], v[2:3], off
	v_add_nc_u64_e32 v[4:5], 64, v[4:5]
	s_wait_xcnt 0x0
	v_add_nc_u64_e32 v[2:3], s[6:7], v[2:3]
	s_delay_alu instid0(VALU_DEP_2)
	v_cmp_le_i64_e32 vcc_lo, s[8:9], v[4:5]
	s_or_b32 s12, vcc_lo, s12
	s_wait_loadcnt 0x0
	ds_store_b64 v6, v[8:9]
	v_add_nc_u32_e32 v6, 0x200, v6
	s_and_not1_b32 exec_lo, exec_lo, s12
	s_cbranch_execnz .LBB20_4
.LBB20_5:
	s_or_b32 exec_lo, exec_lo, s24
	s_bfe_u32 s6, ttmp6, 0x40010
	s_bfe_u32 s7, ttmp6, 0x40004
	s_add_co_i32 s6, s6, 1
	s_wait_dscnt 0x0
	s_mul_i32 s6, ttmp7, s6
	s_barrier_signal -1
	s_add_co_i32 s6, s7, s6
	s_cmp_eq_u32 s3, 0
	s_mov_b32 s7, 0
	s_cselect_b32 s6, ttmp7, s6
	s_barrier_wait -1
	v_cmp_le_i64_e64 s3, s[10:11], s[6:7]
	s_and_b32 vcc_lo, exec_lo, s3
	s_cbranch_vccnz .LBB20_34
; %bb.6:
	v_mov_b32_e32 v3, -1
	v_not_b32_e32 v2, v0
	s_load_b256 s[12:19], s[0:1], 0x40
	s_mul_u64 s[22:23], s[22:23], s[4:5]
	v_lshrrev_b32_e32 v26, 2, v0
	s_lshl_b64 s[22:23], s[22:23], 3
	v_add_nc_u64_e32 v[4:5], s[8:9], v[2:3]
	v_mov_b32_e32 v3, 0
	s_cmp_gt_i32 s8, 1
	s_add_nc_u64 s[20:21], s[20:21], s[22:23]
	s_cselect_b32 s22, -1, 0
	s_delay_alu instid0(VALU_DEP_1) | instskip(NEXT) | instid1(VALU_DEP_3)
	v_dual_mov_b32 v19, v3 :: v_dual_lshlrev_b32 v18, 3, v0
	v_lshrrev_b64 v[6:7], 6, v[4:5]
	v_and_b32_e32 v2, 31, v0
	v_lshlrev_b64_e32 v[10:11], 3, v[4:5]
	v_mbcnt_lo_u32_b32 v35, -1, 0
	s_wait_xcnt 0x0
	v_cmp_gt_i32_e64 s0, s8, v0
	v_cmp_eq_u32_e64 s1, 0, v0
	v_cmp_eq_u32_e64 s3, 0, v2
	v_add_nc_u64_e32 v[6:7], 1, v[6:7]
	v_lshl_or_b32 v36, v35, 2, 64
	s_wait_kmcnt 0x0
	s_mul_u64 s[24:25], s[18:19], s[4:5]
	s_mul_u64 s[26:27], s[16:17], s[6:7]
	v_cmp_gt_u64_e64 s18, 0xc0, v[4:5]
	s_add_nc_u64 s[28:29], s[24:25], s[26:27]
	s_lshl_b64 s[24:25], s[24:25], 3
	s_add_nc_u64 s[28:29], s[28:29], s[14:15]
	v_dual_mov_b32 v13, v7 :: v_dual_bitop2_b32 v12, -2, v6 bitop3:0x40
	v_add_nc_u64_e32 v[8:9], s[28:29], v[0:1]
	s_lshl_b64 s[26:27], s[26:27], 3
	s_lshl_b64 s[14:15], s[14:15], 3
	s_add_nc_u64 s[24:25], s[24:25], s[26:27]
	v_lshlrev_b64_e32 v[14:15], 6, v[12:13]
	s_add_nc_u64 s[14:15], s[24:25], s[14:15]
	s_mov_b64 s[24:25], 0x1fffffffffffffff
	v_lshl_add_u64 v[16:17], v[8:9], 3, s[12:13]
	s_add_nc_u64 s[12:13], s[12:13], s[14:15]
	v_cmp_lt_u64_e32 vcc_lo, s[24:25], v[4:5]
	v_add_nc_u64_e32 v[20:21], s[12:13], v[18:19]
	v_dual_mov_b32 v2, v0 :: v_dual_bitop2_b32 v14, v14, v0 bitop3:0x54
	v_cmp_lt_u64_e64 s4, 0xbf, v[4:5]
	v_cmp_ne_u64_e64 s5, v[6:7], v[12:13]
	v_and_b32_e32 v10, 0xfffffe00, v10
	s_delay_alu instid0(VALU_DEP_4)
	v_lshlrev_b64_e32 v[24:25], 3, v[14:15]
	v_add_nc_u64_e32 v[22:23], 0x204, v[20:21]
	v_dual_mov_b32 v5, v3 :: v_dual_bitop2_b32 v4, 64, v0 bitop3:0x54
	v_or_b32_e32 v37, 0x4000, v26
	s_lshl_b64 s[14:15], s[16:17], 9
	s_mov_b64 s[16:17], 0
	s_xor_b32 s19, vcc_lo, -1
	s_branch .LBB20_8
.LBB20_7:                               ;   in Loop: Header=BB20_8 Depth=1
	s_or_b32 exec_lo, exec_lo, s23
	s_add_nc_u64 s[6:7], s[6:7], 64
	v_add_nc_u64_e32 v[20:21], s[14:15], v[20:21]
	v_cmp_ge_i64_e64 s23, s[6:7], s[10:11]
	v_add_nc_u64_e32 v[22:23], s[14:15], v[22:23]
	s_add_nc_u64 s[16:17], s[16:17], 1
	s_add_nc_u64 s[12:13], s[12:13], s[14:15]
	s_and_b32 vcc_lo, exec_lo, s23
	s_cbranch_vccnz .LBB20_34
.LBB20_8:                               ; =>This Loop Header: Depth=1
                                        ;     Child Loop BB20_10 Depth 2
                                        ;     Child Loop BB20_26 Depth 2
	;; [unrolled: 1-line block ×3, first 2 shown]
	v_mov_b64_e32 v[6:7], 0
	s_and_saveexec_b32 s23, s0
	s_cbranch_execz .LBB20_12
; %bb.9:                                ;   in Loop: Header=BB20_8 Depth=1
	v_dual_mov_b32 v6, 0 :: v_dual_mov_b32 v26, v34
	v_mov_b64_e32 v[8:9], v[20:21]
	v_mov_b32_e32 v27, v0
	s_mov_b32 s24, 0
	s_delay_alu instid0(VALU_DEP_3)
	v_mov_b32_e32 v7, v6
.LBB20_10:                              ;   Parent Loop BB20_8 Depth=1
                                        ; =>  This Inner Loop Header: Depth=2
	global_load_b64 v[28:29], v[8:9], off
	ds_load_b64 v[30:31], v26
	s_wait_xcnt 0x0
	v_add_nc_u64_e32 v[8:9], 0x200, v[8:9]
	v_add_nc_u32_e32 v27, 64, v27
	v_add_nc_u32_e32 v26, 0x200, v26
	s_delay_alu instid0(VALU_DEP_2)
	v_cmp_le_i32_e32 vcc_lo, s8, v27
	s_or_b32 s24, vcc_lo, s24
	s_wait_dscnt 0x0
	v_mov_b32_e32 v38, v31
	s_wait_loadcnt 0x0
	v_pk_mul_f32 v[32:33], v[28:29], v[30:31] op_sel_hi:[1,0]
	s_delay_alu instid0(VALU_DEP_1) | instskip(NEXT) | instid1(VALU_DEP_3)
	v_pk_fma_f32 v[30:31], v[28:29], v[30:31], v[32:33] op_sel:[1,1,0] op_sel_hi:[0,1,1] neg_lo:[0,0,1] neg_hi:[0,0,1]
	v_pk_fma_f32 v[28:29], v[28:29], v[38:39], v[32:33] op_sel:[1,0,0] op_sel_hi:[0,1,1]
	s_delay_alu instid0(VALU_DEP_2) | instskip(NEXT) | instid1(VALU_DEP_1)
	v_mov_b32_e32 v29, v31
	v_pk_add_f32 v[6:7], v[6:7], v[28:29]
	s_and_not1_b32 exec_lo, exec_lo, s24
	s_cbranch_execnz .LBB20_10
; %bb.11:                               ;   in Loop: Header=BB20_8 Depth=1
	s_or_b32 exec_lo, exec_lo, s24
.LBB20_12:                              ;   in Loop: Header=BB20_8 Depth=1
	s_delay_alu instid0(SALU_CYCLE_1) | instskip(NEXT) | instid1(SALU_CYCLE_1)
	s_or_b32 exec_lo, exec_lo, s23
	s_and_b32 vcc_lo, exec_lo, s22
	s_cbranch_vccz .LBB20_19
; %bb.13:                               ;   in Loop: Header=BB20_8 Depth=1
	v_cmp_ne_u32_e32 vcc_lo, 31, v35
	v_add_co_ci_u32_e64 v8, null, 0, v35, vcc_lo
	v_cmp_gt_u32_e32 vcc_lo, 30, v35
	s_delay_alu instid0(VALU_DEP_2)
	v_lshlrev_b32_e32 v9, 2, v8
	v_cndmask_b32_e64 v26, 0, 2, vcc_lo
	v_cmp_gt_u32_e32 vcc_lo, 28, v35
	ds_bpermute_b32 v8, v9, v6
	ds_bpermute_b32 v9, v9, v7
	v_add_lshl_u32 v27, v26, v35, 2
	v_cndmask_b32_e64 v28, 0, 4, vcc_lo
	v_cmp_gt_u32_e32 vcc_lo, 24, v35
	s_delay_alu instid0(VALU_DEP_2)
	v_add_lshl_u32 v28, v28, v35, 2
	s_wait_dscnt 0x0
	v_pk_add_f32 v[8:9], v[6:7], v[8:9]
	ds_bpermute_b32 v26, v27, v8
	ds_bpermute_b32 v27, v27, v9
	s_wait_dscnt 0x0
	v_pk_add_f32 v[8:9], v[8:9], v[26:27]
	ds_bpermute_b32 v26, v28, v8
	ds_bpermute_b32 v27, v28, v9
	v_cndmask_b32_e64 v28, 0, 8, vcc_lo
	s_delay_alu instid0(VALU_DEP_1)
	v_add_lshl_u32 v28, v28, v35, 2
	s_wait_dscnt 0x0
	v_pk_add_f32 v[8:9], v[8:9], v[26:27]
	ds_bpermute_b32 v26, v28, v8
	ds_bpermute_b32 v27, v28, v9
	s_wait_dscnt 0x0
	v_pk_add_f32 v[8:9], v[8:9], v[26:27]
	ds_bpermute_b32 v26, v36, v8
	ds_bpermute_b32 v27, v36, v9
	s_wait_dscnt 0x0
	v_pk_add_f32 v[26:27], v[8:9], v[26:27]
	s_and_saveexec_b32 s23, s3
; %bb.14:                               ;   in Loop: Header=BB20_8 Depth=1
	ds_store_2addr_b32 v37, v26, v27 offset1:1
; %bb.15:                               ;   in Loop: Header=BB20_8 Depth=1
	s_or_b32 exec_lo, exec_lo, s23
	s_mov_b32 s24, 0
	s_mov_b32 s23, 0
	s_wait_dscnt 0x0
	s_barrier_signal -1
	s_barrier_wait -1
                                        ; implicit-def: $vgpr8_vgpr9
	s_and_saveexec_b32 s25, s1
	s_delay_alu instid0(SALU_CYCLE_1)
	s_xor_b32 s25, exec_lo, s25
	s_cbranch_execz .LBB20_17
; %bb.16:                               ;   in Loop: Header=BB20_8 Depth=1
	ds_load_b64 v[8:9], v3 offset:16392
	s_mov_b32 s23, exec_lo
	s_wait_dscnt 0x0
	v_pk_add_f32 v[8:9], v[26:27], v[8:9]
.LBB20_17:                              ;   in Loop: Header=BB20_8 Depth=1
	s_or_b32 exec_lo, exec_lo, s25
	s_delay_alu instid0(SALU_CYCLE_1)
	s_and_b32 vcc_lo, exec_lo, s24
	s_cbranch_vccnz .LBB20_20
.LBB20_18:                              ;   in Loop: Header=BB20_8 Depth=1
	s_delay_alu instid0(VALU_DEP_1)
	v_mov_b64_e32 v[6:7], v[8:9]
	s_and_saveexec_b32 s24, s23
	s_cbranch_execnz .LBB20_21
	s_branch .LBB20_22
.LBB20_19:                              ;   in Loop: Header=BB20_8 Depth=1
	s_mov_b32 s23, 0
                                        ; implicit-def: $vgpr8_vgpr9
	s_cbranch_execz .LBB20_18
.LBB20_20:                              ;   in Loop: Header=BB20_8 Depth=1
	s_and_not1_b32 s23, s23, exec_lo
	s_and_b32 s24, s1, exec_lo
	s_delay_alu instid0(SALU_CYCLE_1) | instskip(NEXT) | instid1(SALU_CYCLE_1)
	s_or_b32 s23, s23, s24
	s_and_saveexec_b32 s24, s23
.LBB20_21:                              ;   in Loop: Header=BB20_8 Depth=1
	ds_store_b64 v3, v[6:7] offset:16384
.LBB20_22:                              ;   in Loop: Header=BB20_8 Depth=1
	s_or_b32 exec_lo, exec_lo, s24
	s_wait_dscnt 0x0
	s_barrier_signal -1
	s_barrier_wait -1
	s_and_saveexec_b32 s23, s2
	s_cbranch_execz .LBB20_7
; %bb.23:                               ;   in Loop: Header=BB20_8 Depth=1
	global_load_b64 v[8:9], v3, s[20:21]
	ds_load_b64 v[30:31], v3 offset:16384
	s_mov_b32 s25, s18
	s_wait_loadcnt_dscnt 0x0
	v_dual_mul_f32 v6, v9, v31 :: v_dual_mul_f32 v7, v9, v30
	v_xor_b32_e32 v9, 0x80000000, v8
	s_delay_alu instid0(VALU_DEP_2) | instskip(NEXT) | instid1(VALU_DEP_3)
	v_xor_b32_e32 v26, 0x80000000, v6
	v_xor_b32_e32 v28, 0x80000000, v7
	v_mov_b64_e32 v[6:7], v[0:1]
	s_delay_alu instid0(VALU_DEP_2)
	v_dual_fmac_f32 v26, v30, v9 :: v_dual_fmac_f32 v28, v8, v31
	v_mov_b64_e32 v[8:9], v[18:19]
	s_wait_xcnt 0x0
	s_and_saveexec_b32 s24, s4
	s_cbranch_execz .LBB20_31
; %bb.24:                               ;   in Loop: Header=BB20_8 Depth=1
	v_mad_nc_u64_u32 v[6:7], s14, s16, v[16:17]
	s_mul_i32 s25, s15, s16
	s_mul_i32 s26, s14, s17
	s_delay_alu instid0(VALU_DEP_1) | instid1(SALU_CYCLE_1)
	v_add3_u32 v7, s26, s25, v7
	s_mov_b32 s26, -1
	s_delay_alu instid0(VALU_DEP_1) | instskip(NEXT) | instid1(VALU_DEP_1)
	v_add_nc_u64_e32 v[8:9], v[6:7], v[10:11]
	v_cmp_ge_u64_e32 vcc_lo, v[8:9], v[6:7]
	v_mov_b64_e32 v[6:7], v[0:1]
	v_mov_b64_e32 v[8:9], v[18:19]
	s_and_b32 s27, vcc_lo, s19
	s_delay_alu instid0(SALU_CYCLE_1)
	s_and_saveexec_b32 s25, s27
	s_cbranch_execz .LBB20_30
; %bb.25:                               ;   in Loop: Header=BB20_8 Depth=1
	v_mov_b64_e32 v[8:9], v[4:5]
	v_mov_b64_e32 v[30:31], v[12:13]
	;; [unrolled: 1-line block ×4, first 2 shown]
	v_dual_mov_b32 v27, v26 :: v_dual_mov_b32 v29, v28
	s_mov_b32 s26, 0
.LBB20_26:                              ;   Parent Loop BB20_8 Depth=1
                                        ; =>  This Inner Loop Header: Depth=2
	s_clause 0x1
	global_load_b64 v[38:39], v[32:33], off offset:-516
	global_load_b64 v[40:41], v[32:33], off offset:-4
	v_dual_lshlrev_b32 v42, 3, v8 :: v_dual_lshlrev_b32 v44, 3, v6
	v_add_nc_u64_e32 v[30:31], -2, v[30:31]
	v_add_nc_u64_e32 v[8:9], 0x80, v[8:9]
	ds_load_b64 v[42:43], v42
	ds_load_b64 v[44:45], v44
	v_add_nc_u64_e32 v[6:7], 0x80, v[6:7]
	v_cmp_eq_u64_e32 vcc_lo, 0, v[30:31]
	s_or_b32 s26, vcc_lo, s26
	s_wait_dscnt 0x0
	v_dual_mov_b32 v47, v42 :: v_dual_mov_b32 v42, v45
	v_mov_b32_e32 v46, v44
	s_delay_alu instid0(VALU_DEP_2) | instskip(SKIP_1) | instid1(VALU_DEP_2)
	v_pk_mul_f32 v[44:45], v[28:29], v[42:43]
	v_pk_mul_f32 v[42:43], v[26:27], v[42:43]
	v_pk_fma_f32 v[44:45], v[26:27], v[46:47], v[44:45] neg_lo:[0,0,1] neg_hi:[0,0,1]
	s_delay_alu instid0(VALU_DEP_2) | instskip(SKIP_3) | instid1(VALU_DEP_2)
	v_pk_fma_f32 v[42:43], v[28:29], v[46:47], v[42:43]
	s_wait_loadcnt 0x0
	v_dual_mov_b32 v46, v38 :: v_dual_mov_b32 v47, v40
	v_mov_b32_e32 v40, v39
	v_pk_add_f32 v[38:39], v[46:47], v[44:45]
	s_delay_alu instid0(VALU_DEP_2) | instskip(NEXT) | instid1(VALU_DEP_1)
	v_pk_add_f32 v[40:41], v[42:43], v[40:41]
	v_dual_mov_b32 v42, v38 :: v_dual_mov_b32 v43, v40
	s_delay_alu instid0(VALU_DEP_3)
	v_mov_b32_e32 v40, v39
	s_clause 0x1
	global_store_b64 v[32:33], v[42:43], off offset:-516
	global_store_b64 v[32:33], v[40:41], off offset:-4
	s_wait_xcnt 0x0
	v_add_nc_u64_e32 v[32:33], 0x400, v[32:33]
	s_and_not1_b32 exec_lo, exec_lo, s26
	s_cbranch_execnz .LBB20_26
; %bb.27:                               ;   in Loop: Header=BB20_8 Depth=1
	s_or_b32 exec_lo, exec_lo, s26
	s_mov_b32 s26, 0
	s_and_saveexec_b32 s27, s5
; %bb.28:                               ;   in Loop: Header=BB20_8 Depth=1
	s_mov_b32 s26, exec_lo
; %bb.29:                               ;   in Loop: Header=BB20_8 Depth=1
	s_or_b32 exec_lo, exec_lo, s27
	v_mov_b64_e32 v[6:7], v[14:15]
	v_mov_b64_e32 v[8:9], v[24:25]
	s_or_not1_b32 s26, s26, exec_lo
.LBB20_30:                              ;   in Loop: Header=BB20_8 Depth=1
	s_or_b32 exec_lo, exec_lo, s25
	s_delay_alu instid0(SALU_CYCLE_1) | instskip(SKIP_1) | instid1(SALU_CYCLE_1)
	s_and_not1_b32 s25, s18, exec_lo
	s_and_b32 s26, s26, exec_lo
	s_or_b32 s25, s25, s26
.LBB20_31:                              ;   in Loop: Header=BB20_8 Depth=1
	s_or_b32 exec_lo, exec_lo, s24
	s_delay_alu instid0(SALU_CYCLE_1)
	s_and_b32 exec_lo, exec_lo, s25
	s_cbranch_execz .LBB20_7
; %bb.32:                               ;   in Loop: Header=BB20_8 Depth=1
	v_add_nc_u64_e32 v[8:9], s[12:13], v[8:9]
	v_dual_mov_b32 v29, v28 :: v_dual_mov_b32 v27, v26
	v_lshlrev_b32_e32 v30, 3, v6
	s_mov_b32 s24, 0
.LBB20_33:                              ;   Parent Loop BB20_8 Depth=1
                                        ; =>  This Inner Loop Header: Depth=2
	global_load_b64 v[32:33], v[8:9], off
	ds_load_b64 v[38:39], v30
	v_add_nc_u64_e32 v[6:7], 64, v[6:7]
	v_add_nc_u32_e32 v30, 0x200, v30
	s_delay_alu instid0(VALU_DEP_2) | instskip(SKIP_3) | instid1(VALU_DEP_1)
	v_cmp_le_i64_e32 vcc_lo, s[8:9], v[6:7]
	s_or_b32 s24, vcc_lo, s24
	s_wait_dscnt 0x0
	v_pk_mul_f32 v[40:41], v[28:29], v[38:39] op_sel:[0,1] op_sel_hi:[1,0]
	v_pk_fma_f32 v[42:43], v[26:27], v[38:39], v[40:41]
	v_pk_fma_f32 v[38:39], v[26:27], v[38:39], v[40:41] neg_lo:[0,0,1] neg_hi:[0,0,1]
	s_delay_alu instid0(VALU_DEP_2) | instskip(SKIP_1) | instid1(VALU_DEP_1)
	v_mov_b32_e32 v39, v43
	s_wait_loadcnt 0x0
	v_pk_add_f32 v[32:33], v[32:33], v[38:39]
	global_store_b64 v[8:9], v[32:33], off
	s_wait_xcnt 0x0
	v_add_nc_u64_e32 v[8:9], 0x200, v[8:9]
	s_and_not1_b32 exec_lo, exec_lo, s24
	s_cbranch_execnz .LBB20_33
	s_branch .LBB20_7
.LBB20_34:
	s_endpgm
	.section	.rodata,"a",@progbits
	.p2align	6, 0x0
	.amdhsa_kernel _ZN9rocsolver6v33100L22larf_left_kernel_smallILi64E19rocblas_complex_numIfElPS3_EEvT1_S5_T2_lS5_lPKT0_lS6_lS5_l
		.amdhsa_group_segment_fixed_size 16896
		.amdhsa_private_segment_fixed_size 0
		.amdhsa_kernarg_size 96
		.amdhsa_user_sgpr_count 2
		.amdhsa_user_sgpr_dispatch_ptr 0
		.amdhsa_user_sgpr_queue_ptr 0
		.amdhsa_user_sgpr_kernarg_segment_ptr 1
		.amdhsa_user_sgpr_dispatch_id 0
		.amdhsa_user_sgpr_kernarg_preload_length 0
		.amdhsa_user_sgpr_kernarg_preload_offset 0
		.amdhsa_user_sgpr_private_segment_size 0
		.amdhsa_wavefront_size32 1
		.amdhsa_uses_dynamic_stack 0
		.amdhsa_enable_private_segment 0
		.amdhsa_system_sgpr_workgroup_id_x 1
		.amdhsa_system_sgpr_workgroup_id_y 1
		.amdhsa_system_sgpr_workgroup_id_z 0
		.amdhsa_system_sgpr_workgroup_info 0
		.amdhsa_system_vgpr_workitem_id 0
		.amdhsa_next_free_vgpr 113
		.amdhsa_next_free_sgpr 30
		.amdhsa_named_barrier_count 0
		.amdhsa_reserve_vcc 1
		.amdhsa_float_round_mode_32 0
		.amdhsa_float_round_mode_16_64 0
		.amdhsa_float_denorm_mode_32 3
		.amdhsa_float_denorm_mode_16_64 3
		.amdhsa_fp16_overflow 0
		.amdhsa_memory_ordered 1
		.amdhsa_forward_progress 1
		.amdhsa_inst_pref_size 15
		.amdhsa_round_robin_scheduling 0
		.amdhsa_exception_fp_ieee_invalid_op 0
		.amdhsa_exception_fp_denorm_src 0
		.amdhsa_exception_fp_ieee_div_zero 0
		.amdhsa_exception_fp_ieee_overflow 0
		.amdhsa_exception_fp_ieee_underflow 0
		.amdhsa_exception_fp_ieee_inexact 0
		.amdhsa_exception_int_div_zero 0
	.end_amdhsa_kernel
	.section	.text._ZN9rocsolver6v33100L22larf_left_kernel_smallILi64E19rocblas_complex_numIfElPS3_EEvT1_S5_T2_lS5_lPKT0_lS6_lS5_l,"axG",@progbits,_ZN9rocsolver6v33100L22larf_left_kernel_smallILi64E19rocblas_complex_numIfElPS3_EEvT1_S5_T2_lS5_lPKT0_lS6_lS5_l,comdat
.Lfunc_end20:
	.size	_ZN9rocsolver6v33100L22larf_left_kernel_smallILi64E19rocblas_complex_numIfElPS3_EEvT1_S5_T2_lS5_lPKT0_lS6_lS5_l, .Lfunc_end20-_ZN9rocsolver6v33100L22larf_left_kernel_smallILi64E19rocblas_complex_numIfElPS3_EEvT1_S5_T2_lS5_lPKT0_lS6_lS5_l
                                        ; -- End function
	.set _ZN9rocsolver6v33100L22larf_left_kernel_smallILi64E19rocblas_complex_numIfElPS3_EEvT1_S5_T2_lS5_lPKT0_lS6_lS5_l.num_vgpr, 48
	.set _ZN9rocsolver6v33100L22larf_left_kernel_smallILi64E19rocblas_complex_numIfElPS3_EEvT1_S5_T2_lS5_lPKT0_lS6_lS5_l.num_agpr, 0
	.set _ZN9rocsolver6v33100L22larf_left_kernel_smallILi64E19rocblas_complex_numIfElPS3_EEvT1_S5_T2_lS5_lPKT0_lS6_lS5_l.numbered_sgpr, 30
	.set _ZN9rocsolver6v33100L22larf_left_kernel_smallILi64E19rocblas_complex_numIfElPS3_EEvT1_S5_T2_lS5_lPKT0_lS6_lS5_l.num_named_barrier, 0
	.set _ZN9rocsolver6v33100L22larf_left_kernel_smallILi64E19rocblas_complex_numIfElPS3_EEvT1_S5_T2_lS5_lPKT0_lS6_lS5_l.private_seg_size, 0
	.set _ZN9rocsolver6v33100L22larf_left_kernel_smallILi64E19rocblas_complex_numIfElPS3_EEvT1_S5_T2_lS5_lPKT0_lS6_lS5_l.uses_vcc, 1
	.set _ZN9rocsolver6v33100L22larf_left_kernel_smallILi64E19rocblas_complex_numIfElPS3_EEvT1_S5_T2_lS5_lPKT0_lS6_lS5_l.uses_flat_scratch, 0
	.set _ZN9rocsolver6v33100L22larf_left_kernel_smallILi64E19rocblas_complex_numIfElPS3_EEvT1_S5_T2_lS5_lPKT0_lS6_lS5_l.has_dyn_sized_stack, 0
	.set _ZN9rocsolver6v33100L22larf_left_kernel_smallILi64E19rocblas_complex_numIfElPS3_EEvT1_S5_T2_lS5_lPKT0_lS6_lS5_l.has_recursion, 0
	.set _ZN9rocsolver6v33100L22larf_left_kernel_smallILi64E19rocblas_complex_numIfElPS3_EEvT1_S5_T2_lS5_lPKT0_lS6_lS5_l.has_indirect_call, 0
	.section	.AMDGPU.csdata,"",@progbits
; Kernel info:
; codeLenInByte = 1916
; TotalNumSgprs: 32
; NumVgprs: 48
; ScratchSize: 0
; MemoryBound: 0
; FloatMode: 240
; IeeeMode: 1
; LDSByteSize: 16896 bytes/workgroup (compile time only)
; SGPRBlocks: 0
; VGPRBlocks: 7
; NumSGPRsForWavesPerEU: 32
; NumVGPRsForWavesPerEU: 113
; NamedBarCnt: 0
; Occupancy: 8
; WaveLimiterHint : 1
; COMPUTE_PGM_RSRC2:SCRATCH_EN: 0
; COMPUTE_PGM_RSRC2:USER_SGPR: 2
; COMPUTE_PGM_RSRC2:TRAP_HANDLER: 0
; COMPUTE_PGM_RSRC2:TGID_X_EN: 1
; COMPUTE_PGM_RSRC2:TGID_Y_EN: 1
; COMPUTE_PGM_RSRC2:TGID_Z_EN: 0
; COMPUTE_PGM_RSRC2:TIDIG_COMP_CNT: 0
	.section	.text._ZN9rocsolver6v33100L22larf_left_kernel_smallILi128E19rocblas_complex_numIfElPS3_EEvT1_S5_T2_lS5_lPKT0_lS6_lS5_l,"axG",@progbits,_ZN9rocsolver6v33100L22larf_left_kernel_smallILi128E19rocblas_complex_numIfElPS3_EEvT1_S5_T2_lS5_lPKT0_lS6_lS5_l,comdat
	.globl	_ZN9rocsolver6v33100L22larf_left_kernel_smallILi128E19rocblas_complex_numIfElPS3_EEvT1_S5_T2_lS5_lPKT0_lS6_lS5_l ; -- Begin function _ZN9rocsolver6v33100L22larf_left_kernel_smallILi128E19rocblas_complex_numIfElPS3_EEvT1_S5_T2_lS5_lPKT0_lS6_lS5_l
	.p2align	8
	.type	_ZN9rocsolver6v33100L22larf_left_kernel_smallILi128E19rocblas_complex_numIfElPS3_EEvT1_S5_T2_lS5_lPKT0_lS6_lS5_l,@function
_ZN9rocsolver6v33100L22larf_left_kernel_smallILi128E19rocblas_complex_numIfElPS3_EEvT1_S5_T2_lS5_lPKT0_lS6_lS5_l: ; @_ZN9rocsolver6v33100L22larf_left_kernel_smallILi128E19rocblas_complex_numIfElPS3_EEvT1_S5_T2_lS5_lPKT0_lS6_lS5_l
; %bb.0:
	s_load_b512 s[8:23], s[0:1], 0x0
	s_mov_b64 s[6:7], 0
	s_wait_kmcnt 0x0
	v_cmp_gt_i64_e64 s2, s[16:17], 0
	s_and_b32 vcc_lo, exec_lo, s2
	s_cbranch_vccnz .LBB21_2
; %bb.1:
	s_sub_nc_u64 s[2:3], 1, s[8:9]
	s_delay_alu instid0(SALU_CYCLE_1)
	s_mul_u64 s[6:7], s[16:17], s[2:3]
.LBB21_2:
	s_bfe_u32 s2, ttmp6, 0x4000c
	v_dual_mov_b32 v1, 0 :: v_dual_lshlrev_b32 v34, 3, v0
	s_add_co_i32 s2, s2, 1
	s_and_b32 s3, ttmp6, 15
	s_mul_i32 s4, ttmp9, s2
	s_delay_alu instid0(VALU_DEP_1)
	v_cmp_gt_i64_e64 s2, s[8:9], v[0:1]
	s_add_co_i32 s4, s3, s4
	s_getreg_b32 s3, hwreg(HW_REG_IB_STS2, 6, 4)
	s_mov_b32 s5, 0
	s_cmp_eq_u32 s3, 0
	s_cselect_b32 s4, ttmp9, s4
	s_and_saveexec_b32 s24, s2
	s_cbranch_execz .LBB21_5
; %bb.3:
	v_mul_u64_e32 v[2:3], s[16:17], v[0:1]
	s_lshl_b64 s[14:15], s[14:15], 3
	s_mul_u64 s[18:19], s[18:19], s[4:5]
	s_lshl_b64 s[6:7], s[6:7], 3
	s_add_nc_u64 s[12:13], s[12:13], s[14:15]
	s_lshl_b64 s[14:15], s[18:19], 3
	s_add_nc_u64 s[6:7], s[12:13], s[6:7]
	v_mov_b64_e32 v[4:5], v[0:1]
	s_add_nc_u64 s[6:7], s[6:7], s[14:15]
	v_lshlrev_b32_e32 v6, 3, v0
	s_mov_b32 s12, s5
	s_delay_alu instid0(VALU_DEP_3)
	v_lshl_add_u64 v[2:3], v[2:3], 3, s[6:7]
	s_lshl_b64 s[6:7], s[16:17], 10
.LBB21_4:                               ; =>This Inner Loop Header: Depth=1
	global_load_b64 v[8:9], v[2:3], off
	v_add_nc_u64_e32 v[4:5], 0x80, v[4:5]
	s_wait_xcnt 0x0
	v_add_nc_u64_e32 v[2:3], s[6:7], v[2:3]
	s_delay_alu instid0(VALU_DEP_2)
	v_cmp_le_i64_e32 vcc_lo, s[8:9], v[4:5]
	s_or_b32 s12, vcc_lo, s12
	s_wait_loadcnt 0x0
	ds_store_b64 v6, v[8:9]
	v_add_nc_u32_e32 v6, 0x400, v6
	s_and_not1_b32 exec_lo, exec_lo, s12
	s_cbranch_execnz .LBB21_4
.LBB21_5:
	s_or_b32 exec_lo, exec_lo, s24
	s_bfe_u32 s6, ttmp6, 0x40010
	s_bfe_u32 s7, ttmp6, 0x40004
	s_add_co_i32 s6, s6, 1
	s_wait_dscnt 0x0
	s_mul_i32 s6, ttmp7, s6
	s_barrier_signal -1
	s_add_co_i32 s6, s7, s6
	s_cmp_eq_u32 s3, 0
	s_mov_b32 s7, 0
	s_cselect_b32 s6, ttmp7, s6
	s_barrier_wait -1
	v_cmp_le_i64_e64 s3, s[10:11], s[6:7]
	s_and_b32 vcc_lo, exec_lo, s3
	s_cbranch_vccnz .LBB21_34
; %bb.6:
	v_mov_b32_e32 v3, -1
	v_not_b32_e32 v2, v0
	s_load_b256 s[12:19], s[0:1], 0x40
	s_mul_u64 s[22:23], s[22:23], s[4:5]
	v_lshrrev_b32_e32 v26, 2, v0
	s_lshl_b64 s[22:23], s[22:23], 3
	v_add_nc_u64_e32 v[4:5], s[8:9], v[2:3]
	v_mov_b32_e32 v3, 0
	s_cmp_gt_i32 s8, 1
	s_add_nc_u64 s[20:21], s[20:21], s[22:23]
	s_cselect_b32 s22, -1, 0
	s_delay_alu instid0(VALU_DEP_1) | instskip(NEXT) | instid1(VALU_DEP_3)
	v_dual_mov_b32 v19, v3 :: v_dual_lshlrev_b32 v18, 3, v0
	v_lshrrev_b64 v[6:7], 7, v[4:5]
	v_and_b32_e32 v2, 31, v0
	v_lshlrev_b64_e32 v[10:11], 3, v[4:5]
	v_mbcnt_lo_u32_b32 v35, -1, 0
	s_wait_xcnt 0x0
	v_cmp_gt_i32_e64 s0, s8, v0
	v_cmp_eq_u32_e64 s1, 0, v0
	v_cmp_eq_u32_e64 s3, 0, v2
	v_add_nc_u64_e32 v[6:7], 1, v[6:7]
	v_lshl_or_b32 v36, v35, 2, 64
	s_wait_kmcnt 0x0
	s_mul_u64 s[24:25], s[18:19], s[4:5]
	s_mul_u64 s[26:27], s[16:17], s[6:7]
	v_cmp_gt_u64_e64 s18, 0x180, v[4:5]
	s_add_nc_u64 s[28:29], s[24:25], s[26:27]
	s_lshl_b64 s[24:25], s[24:25], 3
	s_add_nc_u64 s[28:29], s[28:29], s[14:15]
	v_dual_mov_b32 v13, v7 :: v_dual_bitop2_b32 v12, -2, v6 bitop3:0x40
	v_add_nc_u64_e32 v[8:9], s[28:29], v[0:1]
	s_lshl_b64 s[26:27], s[26:27], 3
	s_lshl_b64 s[14:15], s[14:15], 3
	s_add_nc_u64 s[24:25], s[24:25], s[26:27]
	v_lshlrev_b64_e32 v[14:15], 7, v[12:13]
	s_add_nc_u64 s[14:15], s[24:25], s[14:15]
	s_mov_b64 s[24:25], 0x1fffffffffffffff
	v_lshl_add_u64 v[16:17], v[8:9], 3, s[12:13]
	s_add_nc_u64 s[12:13], s[12:13], s[14:15]
	v_cmp_lt_u64_e32 vcc_lo, s[24:25], v[4:5]
	v_add_nc_u64_e32 v[8:9], s[12:13], v[18:19]
	v_dual_mov_b32 v2, v0 :: v_dual_bitop2_b32 v14, v14, v0 bitop3:0x54
	v_cmp_lt_u64_e64 s4, 0x17f, v[4:5]
	v_cmp_ne_u64_e64 s5, v[6:7], v[12:13]
	v_and_b32_e32 v10, 0xfffffc00, v10
	s_delay_alu instid0(VALU_DEP_4)
	v_lshlrev_b64_e32 v[24:25], 3, v[14:15]
	v_add_nc_u64_e32 v[20:21], 4, v[8:9]
	v_add_nc_u64_e32 v[22:23], 0x404, v[8:9]
	v_or_b32_e32 v4, 0x80, v0
	v_dual_mov_b32 v5, v3 :: v_dual_mov_b32 v38, 0x4008
	v_or_b32_e32 v37, 0x4000, v26
	s_lshl_b64 s[14:15], s[16:17], 9
	s_mov_b64 s[16:17], 0
	s_xor_b32 s19, vcc_lo, -1
	s_branch .LBB21_8
.LBB21_7:                               ;   in Loop: Header=BB21_8 Depth=1
	s_or_b32 exec_lo, exec_lo, s23
	s_add_nc_u64 s[6:7], s[6:7], 64
	v_add_nc_u64_e32 v[20:21], s[14:15], v[20:21]
	v_cmp_ge_i64_e64 s23, s[6:7], s[10:11]
	v_add_nc_u64_e32 v[22:23], s[14:15], v[22:23]
	s_add_nc_u64 s[16:17], s[16:17], 1
	s_add_nc_u64 s[12:13], s[12:13], s[14:15]
	s_and_b32 vcc_lo, exec_lo, s23
	s_cbranch_vccnz .LBB21_34
.LBB21_8:                               ; =>This Loop Header: Depth=1
                                        ;     Child Loop BB21_10 Depth 2
                                        ;     Child Loop BB21_26 Depth 2
	;; [unrolled: 1-line block ×3, first 2 shown]
	v_mov_b64_e32 v[6:7], 0
	s_and_saveexec_b32 s23, s0
	s_cbranch_execz .LBB21_12
; %bb.9:                                ;   in Loop: Header=BB21_8 Depth=1
	v_dual_mov_b32 v7, 0 :: v_dual_mov_b32 v26, v34
	v_mov_b64_e32 v[8:9], v[20:21]
	v_mov_b32_e32 v27, v0
	s_mov_b32 s24, 0
	s_delay_alu instid0(VALU_DEP_3)
	v_mov_b32_e32 v6, v7
.LBB21_10:                              ;   Parent Loop BB21_8 Depth=1
                                        ; =>  This Inner Loop Header: Depth=2
	global_load_b64 v[28:29], v[8:9], off offset:-4
	ds_load_b64 v[30:31], v26
	s_wait_xcnt 0x0
	v_add_nc_u64_e32 v[8:9], 0x400, v[8:9]
	v_add_nc_u32_e32 v26, 0x400, v26
	s_wait_loadcnt_dscnt 0x0
	v_dual_mul_f32 v32, v29, v31 :: v_dual_mul_f32 v29, v29, v30
	s_delay_alu instid0(VALU_DEP_1) | instskip(NEXT) | instid1(VALU_DEP_2)
	v_dual_fmac_f32 v32, v28, v30 :: v_dual_add_nc_u32 v27, 0x80, v27
	v_fma_f32 v33, v28, v31, -v29
	s_delay_alu instid0(VALU_DEP_2) | instskip(NEXT) | instid1(VALU_DEP_2)
	v_cmp_le_i32_e32 vcc_lo, s8, v27
	v_pk_add_f32 v[6:7], v[6:7], v[32:33]
	s_or_b32 s24, vcc_lo, s24
	s_delay_alu instid0(SALU_CYCLE_1)
	s_and_not1_b32 exec_lo, exec_lo, s24
	s_cbranch_execnz .LBB21_10
; %bb.11:                               ;   in Loop: Header=BB21_8 Depth=1
	s_or_b32 exec_lo, exec_lo, s24
.LBB21_12:                              ;   in Loop: Header=BB21_8 Depth=1
	s_delay_alu instid0(SALU_CYCLE_1) | instskip(NEXT) | instid1(SALU_CYCLE_1)
	s_or_b32 exec_lo, exec_lo, s23
	s_and_b32 vcc_lo, exec_lo, s22
	s_cbranch_vccz .LBB21_19
; %bb.13:                               ;   in Loop: Header=BB21_8 Depth=1
	v_cmp_ne_u32_e32 vcc_lo, 31, v35
	v_add_co_ci_u32_e64 v8, null, 0, v35, vcc_lo
	v_cmp_gt_u32_e32 vcc_lo, 30, v35
	s_delay_alu instid0(VALU_DEP_2)
	v_lshlrev_b32_e32 v9, 2, v8
	v_cndmask_b32_e64 v26, 0, 2, vcc_lo
	v_cmp_gt_u32_e32 vcc_lo, 28, v35
	ds_bpermute_b32 v8, v9, v6
	ds_bpermute_b32 v9, v9, v7
	v_add_lshl_u32 v27, v26, v35, 2
	v_cndmask_b32_e64 v28, 0, 4, vcc_lo
	v_cmp_gt_u32_e32 vcc_lo, 24, v35
	s_delay_alu instid0(VALU_DEP_2)
	v_add_lshl_u32 v28, v28, v35, 2
	s_wait_dscnt 0x0
	v_pk_add_f32 v[8:9], v[6:7], v[8:9]
	ds_bpermute_b32 v26, v27, v8
	ds_bpermute_b32 v27, v27, v9
	s_wait_dscnt 0x0
	v_pk_add_f32 v[8:9], v[8:9], v[26:27]
	ds_bpermute_b32 v26, v28, v8
	ds_bpermute_b32 v27, v28, v9
	v_cndmask_b32_e64 v28, 0, 8, vcc_lo
	s_delay_alu instid0(VALU_DEP_1)
	v_add_lshl_u32 v28, v28, v35, 2
	s_wait_dscnt 0x0
	v_pk_add_f32 v[8:9], v[8:9], v[26:27]
	ds_bpermute_b32 v26, v28, v8
	ds_bpermute_b32 v27, v28, v9
	s_wait_dscnt 0x0
	v_pk_add_f32 v[8:9], v[8:9], v[26:27]
	ds_bpermute_b32 v26, v36, v8
	ds_bpermute_b32 v27, v36, v9
	s_wait_dscnt 0x0
	v_pk_add_f32 v[8:9], v[8:9], v[26:27]
	s_and_saveexec_b32 s23, s3
; %bb.14:                               ;   in Loop: Header=BB21_8 Depth=1
	ds_store_2addr_b32 v37, v8, v9 offset1:1
; %bb.15:                               ;   in Loop: Header=BB21_8 Depth=1
	s_or_b32 exec_lo, exec_lo, s23
	s_mov_b32 s24, 0
	s_mov_b32 s23, 0
	s_wait_dscnt 0x0
	s_barrier_signal -1
	s_barrier_wait -1
                                        ; implicit-def: $vgpr26_vgpr27
	s_and_saveexec_b32 s25, s1
	s_delay_alu instid0(SALU_CYCLE_1)
	s_xor_b32 s25, exec_lo, s25
	s_cbranch_execz .LBB21_17
; %bb.16:                               ;   in Loop: Header=BB21_8 Depth=1
	ds_load_2addr_b64 v[26:29], v38 offset1:1
	ds_load_b64 v[30:31], v3 offset:16408
	s_mov_b32 s23, exec_lo
	s_wait_dscnt 0x1
	v_pk_add_f32 v[8:9], v[8:9], v[26:27]
	s_delay_alu instid0(VALU_DEP_1) | instskip(SKIP_1) | instid1(VALU_DEP_1)
	v_pk_add_f32 v[8:9], v[8:9], v[28:29]
	s_wait_dscnt 0x0
	v_pk_add_f32 v[26:27], v[8:9], v[30:31]
.LBB21_17:                              ;   in Loop: Header=BB21_8 Depth=1
	s_or_b32 exec_lo, exec_lo, s25
	s_delay_alu instid0(SALU_CYCLE_1)
	s_and_b32 vcc_lo, exec_lo, s24
	s_cbranch_vccnz .LBB21_20
.LBB21_18:                              ;   in Loop: Header=BB21_8 Depth=1
	s_delay_alu instid0(VALU_DEP_1)
	v_mov_b64_e32 v[6:7], v[26:27]
	s_and_saveexec_b32 s24, s23
	s_cbranch_execnz .LBB21_21
	s_branch .LBB21_22
.LBB21_19:                              ;   in Loop: Header=BB21_8 Depth=1
	s_mov_b32 s23, 0
                                        ; implicit-def: $vgpr26_vgpr27
	s_cbranch_execz .LBB21_18
.LBB21_20:                              ;   in Loop: Header=BB21_8 Depth=1
	s_and_not1_b32 s23, s23, exec_lo
	s_and_b32 s24, s1, exec_lo
	s_delay_alu instid0(SALU_CYCLE_1) | instskip(NEXT) | instid1(SALU_CYCLE_1)
	s_or_b32 s23, s23, s24
	s_and_saveexec_b32 s24, s23
.LBB21_21:                              ;   in Loop: Header=BB21_8 Depth=1
	ds_store_b64 v3, v[6:7] offset:16384
.LBB21_22:                              ;   in Loop: Header=BB21_8 Depth=1
	s_or_b32 exec_lo, exec_lo, s24
	s_wait_dscnt 0x0
	s_barrier_signal -1
	s_barrier_wait -1
	s_and_saveexec_b32 s23, s2
	s_cbranch_execz .LBB21_7
; %bb.23:                               ;   in Loop: Header=BB21_8 Depth=1
	global_load_b64 v[8:9], v3, s[20:21]
	ds_load_b64 v[30:31], v3 offset:16384
	s_mov_b32 s25, s18
	s_wait_loadcnt_dscnt 0x0
	v_dual_mul_f32 v6, v9, v31 :: v_dual_mul_f32 v7, v9, v30
	v_xor_b32_e32 v9, 0x80000000, v8
	s_delay_alu instid0(VALU_DEP_2) | instskip(NEXT) | instid1(VALU_DEP_3)
	v_xor_b32_e32 v26, 0x80000000, v6
	v_xor_b32_e32 v28, 0x80000000, v7
	v_mov_b64_e32 v[6:7], v[0:1]
	s_delay_alu instid0(VALU_DEP_2)
	v_dual_fmac_f32 v26, v30, v9 :: v_dual_fmac_f32 v28, v8, v31
	v_mov_b64_e32 v[8:9], v[18:19]
	s_wait_xcnt 0x0
	s_and_saveexec_b32 s24, s4
	s_cbranch_execz .LBB21_31
; %bb.24:                               ;   in Loop: Header=BB21_8 Depth=1
	v_mad_nc_u64_u32 v[6:7], s14, s16, v[16:17]
	s_mul_i32 s25, s15, s16
	s_mul_i32 s26, s14, s17
	s_delay_alu instid0(VALU_DEP_1) | instid1(SALU_CYCLE_1)
	v_add3_u32 v7, s26, s25, v7
	s_mov_b32 s26, -1
	s_delay_alu instid0(VALU_DEP_1) | instskip(NEXT) | instid1(VALU_DEP_1)
	v_add_nc_u64_e32 v[8:9], v[6:7], v[10:11]
	v_cmp_ge_u64_e32 vcc_lo, v[8:9], v[6:7]
	v_mov_b64_e32 v[6:7], v[0:1]
	v_mov_b64_e32 v[8:9], v[18:19]
	s_and_b32 s27, vcc_lo, s19
	s_delay_alu instid0(SALU_CYCLE_1)
	s_and_saveexec_b32 s25, s27
	s_cbranch_execz .LBB21_30
; %bb.25:                               ;   in Loop: Header=BB21_8 Depth=1
	v_mov_b64_e32 v[8:9], v[4:5]
	v_mov_b64_e32 v[30:31], v[12:13]
	v_mov_b64_e32 v[32:33], v[22:23]
	v_mov_b64_e32 v[6:7], v[2:3]
	v_dual_mov_b32 v27, v26 :: v_dual_mov_b32 v29, v28
	s_mov_b32 s26, 0
.LBB21_26:                              ;   Parent Loop BB21_8 Depth=1
                                        ; =>  This Inner Loop Header: Depth=2
	s_clause 0x1
	global_load_b64 v[40:41], v[32:33], off offset:-1028
	global_load_b64 v[42:43], v[32:33], off offset:-4
	v_dual_lshlrev_b32 v39, 3, v8 :: v_dual_lshlrev_b32 v46, 3, v6
	v_add_nc_u64_e32 v[30:31], -2, v[30:31]
	v_add_nc_u64_e32 v[8:9], 0x100, v[8:9]
	ds_load_b64 v[44:45], v39
	ds_load_b64 v[46:47], v46
	v_add_nc_u64_e32 v[6:7], 0x100, v[6:7]
	v_cmp_eq_u64_e32 vcc_lo, 0, v[30:31]
	s_or_b32 s26, vcc_lo, s26
	s_wait_dscnt 0x0
	v_dual_mov_b32 v49, v44 :: v_dual_mov_b32 v44, v47
	v_mov_b32_e32 v48, v46
	s_delay_alu instid0(VALU_DEP_2) | instskip(SKIP_1) | instid1(VALU_DEP_2)
	v_pk_mul_f32 v[46:47], v[28:29], v[44:45]
	v_pk_mul_f32 v[44:45], v[26:27], v[44:45]
	v_pk_fma_f32 v[46:47], v[26:27], v[48:49], v[46:47] neg_lo:[0,0,1] neg_hi:[0,0,1]
	s_delay_alu instid0(VALU_DEP_2) | instskip(SKIP_3) | instid1(VALU_DEP_2)
	v_pk_fma_f32 v[44:45], v[28:29], v[48:49], v[44:45]
	s_wait_loadcnt 0x0
	v_dual_mov_b32 v48, v40 :: v_dual_mov_b32 v49, v42
	v_mov_b32_e32 v42, v41
	v_pk_add_f32 v[40:41], v[48:49], v[46:47]
	s_delay_alu instid0(VALU_DEP_2) | instskip(NEXT) | instid1(VALU_DEP_1)
	v_pk_add_f32 v[42:43], v[44:45], v[42:43]
	v_dual_mov_b32 v44, v40 :: v_dual_mov_b32 v45, v42
	s_delay_alu instid0(VALU_DEP_3)
	v_mov_b32_e32 v42, v41
	s_clause 0x1
	global_store_b64 v[32:33], v[44:45], off offset:-1028
	global_store_b64 v[32:33], v[42:43], off offset:-4
	s_wait_xcnt 0x0
	v_add_nc_u64_e32 v[32:33], 0x800, v[32:33]
	s_and_not1_b32 exec_lo, exec_lo, s26
	s_cbranch_execnz .LBB21_26
; %bb.27:                               ;   in Loop: Header=BB21_8 Depth=1
	s_or_b32 exec_lo, exec_lo, s26
	s_mov_b32 s26, 0
	s_and_saveexec_b32 s27, s5
; %bb.28:                               ;   in Loop: Header=BB21_8 Depth=1
	s_mov_b32 s26, exec_lo
; %bb.29:                               ;   in Loop: Header=BB21_8 Depth=1
	s_or_b32 exec_lo, exec_lo, s27
	v_mov_b64_e32 v[6:7], v[14:15]
	v_mov_b64_e32 v[8:9], v[24:25]
	s_or_not1_b32 s26, s26, exec_lo
.LBB21_30:                              ;   in Loop: Header=BB21_8 Depth=1
	s_or_b32 exec_lo, exec_lo, s25
	s_delay_alu instid0(SALU_CYCLE_1) | instskip(SKIP_1) | instid1(SALU_CYCLE_1)
	s_and_not1_b32 s25, s18, exec_lo
	s_and_b32 s26, s26, exec_lo
	s_or_b32 s25, s25, s26
.LBB21_31:                              ;   in Loop: Header=BB21_8 Depth=1
	s_or_b32 exec_lo, exec_lo, s24
	s_delay_alu instid0(SALU_CYCLE_1)
	s_and_b32 exec_lo, exec_lo, s25
	s_cbranch_execz .LBB21_7
; %bb.32:                               ;   in Loop: Header=BB21_8 Depth=1
	v_add_nc_u64_e32 v[8:9], s[12:13], v[8:9]
	v_dual_mov_b32 v29, v28 :: v_dual_mov_b32 v27, v26
	v_lshlrev_b32_e32 v30, 3, v6
	s_mov_b32 s24, 0
.LBB21_33:                              ;   Parent Loop BB21_8 Depth=1
                                        ; =>  This Inner Loop Header: Depth=2
	global_load_b64 v[32:33], v[8:9], off
	ds_load_b64 v[40:41], v30
	v_add_nc_u64_e32 v[6:7], 0x80, v[6:7]
	v_add_nc_u32_e32 v30, 0x400, v30
	s_delay_alu instid0(VALU_DEP_2) | instskip(SKIP_3) | instid1(VALU_DEP_1)
	v_cmp_le_i64_e32 vcc_lo, s[8:9], v[6:7]
	s_or_b32 s24, vcc_lo, s24
	s_wait_dscnt 0x0
	v_pk_mul_f32 v[42:43], v[28:29], v[40:41] op_sel:[0,1] op_sel_hi:[1,0]
	v_pk_fma_f32 v[44:45], v[26:27], v[40:41], v[42:43]
	v_pk_fma_f32 v[40:41], v[26:27], v[40:41], v[42:43] neg_lo:[0,0,1] neg_hi:[0,0,1]
	s_delay_alu instid0(VALU_DEP_2) | instskip(SKIP_1) | instid1(VALU_DEP_1)
	v_mov_b32_e32 v41, v45
	s_wait_loadcnt 0x0
	v_pk_add_f32 v[32:33], v[32:33], v[40:41]
	global_store_b64 v[8:9], v[32:33], off
	s_wait_xcnt 0x0
	v_add_nc_u64_e32 v[8:9], 0x400, v[8:9]
	s_and_not1_b32 exec_lo, exec_lo, s24
	s_cbranch_execnz .LBB21_33
	s_branch .LBB21_7
.LBB21_34:
	s_endpgm
	.section	.rodata,"a",@progbits
	.p2align	6, 0x0
	.amdhsa_kernel _ZN9rocsolver6v33100L22larf_left_kernel_smallILi128E19rocblas_complex_numIfElPS3_EEvT1_S5_T2_lS5_lPKT0_lS6_lS5_l
		.amdhsa_group_segment_fixed_size 17408
		.amdhsa_private_segment_fixed_size 0
		.amdhsa_kernarg_size 96
		.amdhsa_user_sgpr_count 2
		.amdhsa_user_sgpr_dispatch_ptr 0
		.amdhsa_user_sgpr_queue_ptr 0
		.amdhsa_user_sgpr_kernarg_segment_ptr 1
		.amdhsa_user_sgpr_dispatch_id 0
		.amdhsa_user_sgpr_kernarg_preload_length 0
		.amdhsa_user_sgpr_kernarg_preload_offset 0
		.amdhsa_user_sgpr_private_segment_size 0
		.amdhsa_wavefront_size32 1
		.amdhsa_uses_dynamic_stack 0
		.amdhsa_enable_private_segment 0
		.amdhsa_system_sgpr_workgroup_id_x 1
		.amdhsa_system_sgpr_workgroup_id_y 1
		.amdhsa_system_sgpr_workgroup_id_z 0
		.amdhsa_system_sgpr_workgroup_info 0
		.amdhsa_system_vgpr_workitem_id 0
		.amdhsa_next_free_vgpr 50
		.amdhsa_next_free_sgpr 30
		.amdhsa_named_barrier_count 0
		.amdhsa_reserve_vcc 1
		.amdhsa_float_round_mode_32 0
		.amdhsa_float_round_mode_16_64 0
		.amdhsa_float_denorm_mode_32 3
		.amdhsa_float_denorm_mode_16_64 3
		.amdhsa_fp16_overflow 0
		.amdhsa_memory_ordered 1
		.amdhsa_forward_progress 1
		.amdhsa_inst_pref_size 16
		.amdhsa_round_robin_scheduling 0
		.amdhsa_exception_fp_ieee_invalid_op 0
		.amdhsa_exception_fp_denorm_src 0
		.amdhsa_exception_fp_ieee_div_zero 0
		.amdhsa_exception_fp_ieee_overflow 0
		.amdhsa_exception_fp_ieee_underflow 0
		.amdhsa_exception_fp_ieee_inexact 0
		.amdhsa_exception_int_div_zero 0
	.end_amdhsa_kernel
	.section	.text._ZN9rocsolver6v33100L22larf_left_kernel_smallILi128E19rocblas_complex_numIfElPS3_EEvT1_S5_T2_lS5_lPKT0_lS6_lS5_l,"axG",@progbits,_ZN9rocsolver6v33100L22larf_left_kernel_smallILi128E19rocblas_complex_numIfElPS3_EEvT1_S5_T2_lS5_lPKT0_lS6_lS5_l,comdat
.Lfunc_end21:
	.size	_ZN9rocsolver6v33100L22larf_left_kernel_smallILi128E19rocblas_complex_numIfElPS3_EEvT1_S5_T2_lS5_lPKT0_lS6_lS5_l, .Lfunc_end21-_ZN9rocsolver6v33100L22larf_left_kernel_smallILi128E19rocblas_complex_numIfElPS3_EEvT1_S5_T2_lS5_lPKT0_lS6_lS5_l
                                        ; -- End function
	.set _ZN9rocsolver6v33100L22larf_left_kernel_smallILi128E19rocblas_complex_numIfElPS3_EEvT1_S5_T2_lS5_lPKT0_lS6_lS5_l.num_vgpr, 50
	.set _ZN9rocsolver6v33100L22larf_left_kernel_smallILi128E19rocblas_complex_numIfElPS3_EEvT1_S5_T2_lS5_lPKT0_lS6_lS5_l.num_agpr, 0
	.set _ZN9rocsolver6v33100L22larf_left_kernel_smallILi128E19rocblas_complex_numIfElPS3_EEvT1_S5_T2_lS5_lPKT0_lS6_lS5_l.numbered_sgpr, 30
	.set _ZN9rocsolver6v33100L22larf_left_kernel_smallILi128E19rocblas_complex_numIfElPS3_EEvT1_S5_T2_lS5_lPKT0_lS6_lS5_l.num_named_barrier, 0
	.set _ZN9rocsolver6v33100L22larf_left_kernel_smallILi128E19rocblas_complex_numIfElPS3_EEvT1_S5_T2_lS5_lPKT0_lS6_lS5_l.private_seg_size, 0
	.set _ZN9rocsolver6v33100L22larf_left_kernel_smallILi128E19rocblas_complex_numIfElPS3_EEvT1_S5_T2_lS5_lPKT0_lS6_lS5_l.uses_vcc, 1
	.set _ZN9rocsolver6v33100L22larf_left_kernel_smallILi128E19rocblas_complex_numIfElPS3_EEvT1_S5_T2_lS5_lPKT0_lS6_lS5_l.uses_flat_scratch, 0
	.set _ZN9rocsolver6v33100L22larf_left_kernel_smallILi128E19rocblas_complex_numIfElPS3_EEvT1_S5_T2_lS5_lPKT0_lS6_lS5_l.has_dyn_sized_stack, 0
	.set _ZN9rocsolver6v33100L22larf_left_kernel_smallILi128E19rocblas_complex_numIfElPS3_EEvT1_S5_T2_lS5_lPKT0_lS6_lS5_l.has_recursion, 0
	.set _ZN9rocsolver6v33100L22larf_left_kernel_smallILi128E19rocblas_complex_numIfElPS3_EEvT1_S5_T2_lS5_lPKT0_lS6_lS5_l.has_indirect_call, 0
	.section	.AMDGPU.csdata,"",@progbits
; Kernel info:
; codeLenInByte = 1952
; TotalNumSgprs: 32
; NumVgprs: 50
; ScratchSize: 0
; MemoryBound: 0
; FloatMode: 240
; IeeeMode: 1
; LDSByteSize: 17408 bytes/workgroup (compile time only)
; SGPRBlocks: 0
; VGPRBlocks: 3
; NumSGPRsForWavesPerEU: 32
; NumVGPRsForWavesPerEU: 50
; NamedBarCnt: 0
; Occupancy: 16
; WaveLimiterHint : 1
; COMPUTE_PGM_RSRC2:SCRATCH_EN: 0
; COMPUTE_PGM_RSRC2:USER_SGPR: 2
; COMPUTE_PGM_RSRC2:TRAP_HANDLER: 0
; COMPUTE_PGM_RSRC2:TGID_X_EN: 1
; COMPUTE_PGM_RSRC2:TGID_Y_EN: 1
; COMPUTE_PGM_RSRC2:TGID_Z_EN: 0
; COMPUTE_PGM_RSRC2:TIDIG_COMP_CNT: 0
	.section	.text._ZN9rocsolver6v33100L22larf_left_kernel_smallILi256E19rocblas_complex_numIfElPS3_EEvT1_S5_T2_lS5_lPKT0_lS6_lS5_l,"axG",@progbits,_ZN9rocsolver6v33100L22larf_left_kernel_smallILi256E19rocblas_complex_numIfElPS3_EEvT1_S5_T2_lS5_lPKT0_lS6_lS5_l,comdat
	.globl	_ZN9rocsolver6v33100L22larf_left_kernel_smallILi256E19rocblas_complex_numIfElPS3_EEvT1_S5_T2_lS5_lPKT0_lS6_lS5_l ; -- Begin function _ZN9rocsolver6v33100L22larf_left_kernel_smallILi256E19rocblas_complex_numIfElPS3_EEvT1_S5_T2_lS5_lPKT0_lS6_lS5_l
	.p2align	8
	.type	_ZN9rocsolver6v33100L22larf_left_kernel_smallILi256E19rocblas_complex_numIfElPS3_EEvT1_S5_T2_lS5_lPKT0_lS6_lS5_l,@function
_ZN9rocsolver6v33100L22larf_left_kernel_smallILi256E19rocblas_complex_numIfElPS3_EEvT1_S5_T2_lS5_lPKT0_lS6_lS5_l: ; @_ZN9rocsolver6v33100L22larf_left_kernel_smallILi256E19rocblas_complex_numIfElPS3_EEvT1_S5_T2_lS5_lPKT0_lS6_lS5_l
; %bb.0:
	s_load_b512 s[8:23], s[0:1], 0x0
	s_mov_b64 s[6:7], 0
	s_wait_kmcnt 0x0
	v_cmp_gt_i64_e64 s2, s[16:17], 0
	s_and_b32 vcc_lo, exec_lo, s2
	s_cbranch_vccnz .LBB22_2
; %bb.1:
	s_sub_nc_u64 s[2:3], 1, s[8:9]
	s_delay_alu instid0(SALU_CYCLE_1)
	s_mul_u64 s[6:7], s[16:17], s[2:3]
.LBB22_2:
	s_bfe_u32 s2, ttmp6, 0x4000c
	v_dual_mov_b32 v1, 0 :: v_dual_lshlrev_b32 v34, 3, v0
	s_add_co_i32 s2, s2, 1
	s_and_b32 s3, ttmp6, 15
	s_mul_i32 s4, ttmp9, s2
	s_delay_alu instid0(VALU_DEP_1)
	v_cmp_gt_i64_e64 s2, s[8:9], v[0:1]
	s_add_co_i32 s4, s3, s4
	s_getreg_b32 s3, hwreg(HW_REG_IB_STS2, 6, 4)
	s_mov_b32 s5, 0
	s_cmp_eq_u32 s3, 0
	s_cselect_b32 s4, ttmp9, s4
	s_and_saveexec_b32 s24, s2
	s_cbranch_execz .LBB22_5
; %bb.3:
	v_mul_u64_e32 v[2:3], s[16:17], v[0:1]
	s_lshl_b64 s[14:15], s[14:15], 3
	s_mul_u64 s[18:19], s[18:19], s[4:5]
	s_lshl_b64 s[6:7], s[6:7], 3
	s_add_nc_u64 s[12:13], s[12:13], s[14:15]
	s_lshl_b64 s[14:15], s[18:19], 3
	s_add_nc_u64 s[6:7], s[12:13], s[6:7]
	v_mov_b64_e32 v[4:5], v[0:1]
	s_add_nc_u64 s[6:7], s[6:7], s[14:15]
	v_lshlrev_b32_e32 v6, 3, v0
	s_mov_b32 s12, s5
	s_delay_alu instid0(VALU_DEP_3)
	v_lshl_add_u64 v[2:3], v[2:3], 3, s[6:7]
	s_lshl_b64 s[6:7], s[16:17], 11
.LBB22_4:                               ; =>This Inner Loop Header: Depth=1
	global_load_b64 v[8:9], v[2:3], off
	v_add_nc_u64_e32 v[4:5], 0x100, v[4:5]
	s_wait_xcnt 0x0
	v_add_nc_u64_e32 v[2:3], s[6:7], v[2:3]
	s_delay_alu instid0(VALU_DEP_2)
	v_cmp_le_i64_e32 vcc_lo, s[8:9], v[4:5]
	s_or_b32 s12, vcc_lo, s12
	s_wait_loadcnt 0x0
	ds_store_b64 v6, v[8:9]
	v_add_nc_u32_e32 v6, 0x800, v6
	s_and_not1_b32 exec_lo, exec_lo, s12
	s_cbranch_execnz .LBB22_4
.LBB22_5:
	s_or_b32 exec_lo, exec_lo, s24
	s_bfe_u32 s6, ttmp6, 0x40010
	s_bfe_u32 s7, ttmp6, 0x40004
	s_add_co_i32 s6, s6, 1
	s_wait_dscnt 0x0
	s_mul_i32 s6, ttmp7, s6
	s_barrier_signal -1
	s_add_co_i32 s6, s7, s6
	s_cmp_eq_u32 s3, 0
	s_mov_b32 s7, 0
	s_cselect_b32 s6, ttmp7, s6
	s_barrier_wait -1
	v_cmp_le_i64_e64 s3, s[10:11], s[6:7]
	s_and_b32 vcc_lo, exec_lo, s3
	s_cbranch_vccnz .LBB22_34
; %bb.6:
	v_mov_b32_e32 v3, -1
	v_not_b32_e32 v2, v0
	s_load_b256 s[12:19], s[0:1], 0x40
	s_mul_u64 s[22:23], s[22:23], s[4:5]
	v_lshrrev_b32_e32 v24, 2, v0
	s_lshl_b64 s[22:23], s[22:23], 3
	v_add_nc_u64_e32 v[4:5], s[8:9], v[2:3]
	v_mov_b32_e32 v3, 0
	s_cmp_gt_i32 s8, 1
	s_add_nc_u64 s[20:21], s[20:21], s[22:23]
	s_cselect_b32 s22, -1, 0
	s_delay_alu instid0(VALU_DEP_1) | instskip(NEXT) | instid1(VALU_DEP_3)
	v_dual_mov_b32 v19, v3 :: v_dual_lshlrev_b32 v18, 3, v0
	v_lshrrev_b64 v[6:7], 8, v[4:5]
	v_and_b32_e32 v2, 31, v0
	v_lshlrev_b64_e32 v[10:11], 3, v[4:5]
	v_mbcnt_lo_u32_b32 v35, -1, 0
	v_or_b32_e32 v37, 0x4000, v24
	s_wait_xcnt 0x0
	v_cmp_gt_i32_e64 s0, s8, v0
	v_cmp_eq_u32_e64 s3, 0, v2
	v_add_nc_u64_e32 v[6:7], 1, v[6:7]
	v_cmp_eq_u32_e64 s1, 0, v0
	s_wait_kmcnt 0x0
	s_mul_u64 s[24:25], s[18:19], s[4:5]
	s_mul_u64 s[26:27], s[16:17], s[6:7]
	v_cmp_gt_u64_e64 s18, 0x300, v[4:5]
	s_add_nc_u64 s[28:29], s[24:25], s[26:27]
	s_lshl_b64 s[24:25], s[24:25], 3
	s_add_nc_u64 s[28:29], s[28:29], s[14:15]
	v_dual_mov_b32 v13, v7 :: v_dual_bitop2_b32 v12, -2, v6 bitop3:0x40
	v_add_nc_u64_e32 v[8:9], s[28:29], v[0:1]
	s_lshl_b64 s[26:27], s[26:27], 3
	s_lshl_b64 s[14:15], s[14:15], 3
	s_add_nc_u64 s[24:25], s[24:25], s[26:27]
	v_lshlrev_b64_e32 v[14:15], 8, v[12:13]
	s_add_nc_u64 s[14:15], s[24:25], s[14:15]
	s_mov_b64 s[24:25], 0x1fffffffffffffff
	v_lshl_add_u64 v[16:17], v[8:9], 3, s[12:13]
	s_add_nc_u64 s[12:13], s[12:13], s[14:15]
	v_cmp_lt_u64_e32 vcc_lo, s[24:25], v[4:5]
	v_add_nc_u64_e32 v[20:21], s[12:13], v[18:19]
	v_dual_mov_b32 v2, v0 :: v_dual_bitop2_b32 v14, v14, v0 bitop3:0x54
	v_cmp_lt_u64_e64 s4, 0x2ff, v[4:5]
	v_cmp_ne_u64_e64 s5, v[6:7], v[12:13]
	v_and_b32_e32 v10, 0xfffff800, v10
	s_delay_alu instid0(VALU_DEP_4)
	v_lshlrev_b64_e32 v[24:25], 3, v[14:15]
	v_add_nc_u64_e32 v[22:23], 0x804, v[20:21]
	v_or_b32_e32 v4, 0x100, v0
	v_dual_mov_b32 v5, v3 :: v_dual_mov_b32 v38, 0x4008
	v_lshl_or_b32 v36, v35, 2, 64
	v_mov_b32_e32 v39, 0x4018
	v_mov_b32_e32 v40, 0x4028
	s_lshl_b64 s[14:15], s[16:17], 9
	s_mov_b64 s[16:17], 0
	s_xor_b32 s19, vcc_lo, -1
	s_branch .LBB22_8
.LBB22_7:                               ;   in Loop: Header=BB22_8 Depth=1
	s_or_b32 exec_lo, exec_lo, s23
	s_add_nc_u64 s[6:7], s[6:7], 64
	v_add_nc_u64_e32 v[20:21], s[14:15], v[20:21]
	v_cmp_ge_i64_e64 s23, s[6:7], s[10:11]
	v_add_nc_u64_e32 v[22:23], s[14:15], v[22:23]
	s_add_nc_u64 s[16:17], s[16:17], 1
	s_add_nc_u64 s[12:13], s[12:13], s[14:15]
	s_and_b32 vcc_lo, exec_lo, s23
	s_cbranch_vccnz .LBB22_34
.LBB22_8:                               ; =>This Loop Header: Depth=1
                                        ;     Child Loop BB22_10 Depth 2
                                        ;     Child Loop BB22_26 Depth 2
                                        ;     Child Loop BB22_33 Depth 2
	v_mov_b64_e32 v[6:7], 0
	s_and_saveexec_b32 s23, s0
	s_cbranch_execz .LBB22_12
; %bb.9:                                ;   in Loop: Header=BB22_8 Depth=1
	v_dual_mov_b32 v6, 0 :: v_dual_mov_b32 v26, v34
	v_mov_b64_e32 v[8:9], v[20:21]
	v_mov_b32_e32 v27, v0
	s_mov_b32 s24, 0
	s_delay_alu instid0(VALU_DEP_3)
	v_mov_b32_e32 v7, v6
.LBB22_10:                              ;   Parent Loop BB22_8 Depth=1
                                        ; =>  This Inner Loop Header: Depth=2
	global_load_b64 v[28:29], v[8:9], off
	ds_load_b64 v[30:31], v26
	s_wait_xcnt 0x0
	v_add_nc_u64_e32 v[8:9], 0x800, v[8:9]
	v_add_nc_u32_e32 v27, 0x100, v27
	v_add_nc_u32_e32 v26, 0x800, v26
	s_delay_alu instid0(VALU_DEP_2)
	v_cmp_le_i32_e32 vcc_lo, s8, v27
	s_or_b32 s24, vcc_lo, s24
	s_wait_dscnt 0x0
	v_mov_b32_e32 v42, v31
	s_wait_loadcnt 0x0
	v_pk_mul_f32 v[32:33], v[28:29], v[30:31] op_sel_hi:[1,0]
	s_delay_alu instid0(VALU_DEP_1) | instskip(NEXT) | instid1(VALU_DEP_3)
	v_pk_fma_f32 v[30:31], v[28:29], v[30:31], v[32:33] op_sel:[1,1,0] op_sel_hi:[0,1,1] neg_lo:[0,0,1] neg_hi:[0,0,1]
	v_pk_fma_f32 v[28:29], v[28:29], v[42:43], v[32:33] op_sel:[1,0,0] op_sel_hi:[0,1,1]
	s_delay_alu instid0(VALU_DEP_2) | instskip(NEXT) | instid1(VALU_DEP_1)
	v_mov_b32_e32 v29, v31
	v_pk_add_f32 v[6:7], v[6:7], v[28:29]
	s_and_not1_b32 exec_lo, exec_lo, s24
	s_cbranch_execnz .LBB22_10
; %bb.11:                               ;   in Loop: Header=BB22_8 Depth=1
	s_or_b32 exec_lo, exec_lo, s24
.LBB22_12:                              ;   in Loop: Header=BB22_8 Depth=1
	s_delay_alu instid0(SALU_CYCLE_1) | instskip(NEXT) | instid1(SALU_CYCLE_1)
	s_or_b32 exec_lo, exec_lo, s23
	s_and_b32 vcc_lo, exec_lo, s22
	s_cbranch_vccz .LBB22_19
; %bb.13:                               ;   in Loop: Header=BB22_8 Depth=1
	v_cmp_ne_u32_e32 vcc_lo, 31, v35
	v_add_co_ci_u32_e64 v8, null, 0, v35, vcc_lo
	v_cmp_gt_u32_e32 vcc_lo, 30, v35
	s_delay_alu instid0(VALU_DEP_2)
	v_lshlrev_b32_e32 v9, 2, v8
	v_cndmask_b32_e64 v26, 0, 2, vcc_lo
	v_cmp_gt_u32_e32 vcc_lo, 28, v35
	ds_bpermute_b32 v8, v9, v6
	ds_bpermute_b32 v9, v9, v7
	v_add_lshl_u32 v27, v26, v35, 2
	v_cndmask_b32_e64 v28, 0, 4, vcc_lo
	v_cmp_gt_u32_e32 vcc_lo, 24, v35
	s_delay_alu instid0(VALU_DEP_2)
	v_add_lshl_u32 v28, v28, v35, 2
	s_wait_dscnt 0x0
	v_pk_add_f32 v[8:9], v[6:7], v[8:9]
	ds_bpermute_b32 v26, v27, v8
	ds_bpermute_b32 v27, v27, v9
	s_wait_dscnt 0x0
	v_pk_add_f32 v[8:9], v[8:9], v[26:27]
	ds_bpermute_b32 v26, v28, v8
	ds_bpermute_b32 v27, v28, v9
	v_cndmask_b32_e64 v28, 0, 8, vcc_lo
	s_delay_alu instid0(VALU_DEP_1)
	v_add_lshl_u32 v28, v28, v35, 2
	s_wait_dscnt 0x0
	v_pk_add_f32 v[8:9], v[8:9], v[26:27]
	ds_bpermute_b32 v26, v28, v8
	ds_bpermute_b32 v27, v28, v9
	s_wait_dscnt 0x0
	v_pk_add_f32 v[8:9], v[8:9], v[26:27]
	ds_bpermute_b32 v26, v36, v8
	ds_bpermute_b32 v27, v36, v9
	s_wait_dscnt 0x0
	v_pk_add_f32 v[8:9], v[8:9], v[26:27]
	s_and_saveexec_b32 s23, s3
; %bb.14:                               ;   in Loop: Header=BB22_8 Depth=1
	ds_store_2addr_b32 v37, v8, v9 offset1:1
; %bb.15:                               ;   in Loop: Header=BB22_8 Depth=1
	s_or_b32 exec_lo, exec_lo, s23
	s_mov_b32 s24, 0
	s_mov_b32 s23, 0
	s_wait_dscnt 0x0
	s_barrier_signal -1
	s_barrier_wait -1
                                        ; implicit-def: $vgpr26_vgpr27
	s_and_saveexec_b32 s25, s1
	s_delay_alu instid0(SALU_CYCLE_1)
	s_xor_b32 s25, exec_lo, s25
	s_cbranch_execz .LBB22_17
; %bb.16:                               ;   in Loop: Header=BB22_8 Depth=1
	ds_load_2addr_b64 v[26:29], v38 offset1:1
	ds_load_2addr_b64 v[30:33], v39 offset1:1
	;; [unrolled: 1-line block ×3, first 2 shown]
	s_mov_b32 s23, exec_lo
	s_wait_dscnt 0x2
	v_pk_add_f32 v[8:9], v[8:9], v[26:27]
	ds_load_b64 v[26:27], v3 offset:16440
	v_pk_add_f32 v[8:9], v[8:9], v[28:29]
	s_wait_dscnt 0x2
	s_delay_alu instid0(VALU_DEP_1) | instskip(NEXT) | instid1(VALU_DEP_1)
	v_pk_add_f32 v[8:9], v[8:9], v[30:31]
	v_pk_add_f32 v[8:9], v[8:9], v[32:33]
	s_wait_dscnt 0x1
	s_delay_alu instid0(VALU_DEP_1) | instskip(NEXT) | instid1(VALU_DEP_1)
	v_pk_add_f32 v[8:9], v[8:9], v[42:43]
	v_pk_add_f32 v[8:9], v[8:9], v[44:45]
	s_wait_dscnt 0x0
	s_delay_alu instid0(VALU_DEP_1)
	v_pk_add_f32 v[26:27], v[8:9], v[26:27]
.LBB22_17:                              ;   in Loop: Header=BB22_8 Depth=1
	s_or_b32 exec_lo, exec_lo, s25
	s_delay_alu instid0(SALU_CYCLE_1)
	s_and_b32 vcc_lo, exec_lo, s24
	s_cbranch_vccnz .LBB22_20
.LBB22_18:                              ;   in Loop: Header=BB22_8 Depth=1
	s_delay_alu instid0(VALU_DEP_1)
	v_mov_b64_e32 v[6:7], v[26:27]
	s_and_saveexec_b32 s24, s23
	s_cbranch_execnz .LBB22_21
	s_branch .LBB22_22
.LBB22_19:                              ;   in Loop: Header=BB22_8 Depth=1
	s_mov_b32 s23, 0
                                        ; implicit-def: $vgpr26_vgpr27
	s_cbranch_execz .LBB22_18
.LBB22_20:                              ;   in Loop: Header=BB22_8 Depth=1
	s_and_not1_b32 s23, s23, exec_lo
	s_and_b32 s24, s1, exec_lo
	s_delay_alu instid0(SALU_CYCLE_1) | instskip(NEXT) | instid1(SALU_CYCLE_1)
	s_or_b32 s23, s23, s24
	s_and_saveexec_b32 s24, s23
.LBB22_21:                              ;   in Loop: Header=BB22_8 Depth=1
	ds_store_b64 v3, v[6:7] offset:16384
.LBB22_22:                              ;   in Loop: Header=BB22_8 Depth=1
	s_or_b32 exec_lo, exec_lo, s24
	s_wait_dscnt 0x0
	s_barrier_signal -1
	s_barrier_wait -1
	s_and_saveexec_b32 s23, s2
	s_cbranch_execz .LBB22_7
; %bb.23:                               ;   in Loop: Header=BB22_8 Depth=1
	global_load_b64 v[8:9], v3, s[20:21]
	ds_load_b64 v[30:31], v3 offset:16384
	s_mov_b32 s25, s18
	s_wait_loadcnt_dscnt 0x0
	v_dual_mul_f32 v6, v9, v31 :: v_dual_mul_f32 v7, v9, v30
	v_xor_b32_e32 v9, 0x80000000, v8
	s_delay_alu instid0(VALU_DEP_2) | instskip(NEXT) | instid1(VALU_DEP_3)
	v_xor_b32_e32 v26, 0x80000000, v6
	v_xor_b32_e32 v28, 0x80000000, v7
	v_mov_b64_e32 v[6:7], v[0:1]
	s_delay_alu instid0(VALU_DEP_2)
	v_dual_fmac_f32 v26, v30, v9 :: v_dual_fmac_f32 v28, v8, v31
	v_mov_b64_e32 v[8:9], v[18:19]
	s_wait_xcnt 0x0
	s_and_saveexec_b32 s24, s4
	s_cbranch_execz .LBB22_31
; %bb.24:                               ;   in Loop: Header=BB22_8 Depth=1
	v_mad_nc_u64_u32 v[6:7], s14, s16, v[16:17]
	s_mul_i32 s25, s15, s16
	s_mul_i32 s26, s14, s17
	s_delay_alu instid0(VALU_DEP_1) | instid1(SALU_CYCLE_1)
	v_add3_u32 v7, s26, s25, v7
	s_mov_b32 s26, -1
	s_delay_alu instid0(VALU_DEP_1) | instskip(NEXT) | instid1(VALU_DEP_1)
	v_add_nc_u64_e32 v[8:9], v[6:7], v[10:11]
	v_cmp_ge_u64_e32 vcc_lo, v[8:9], v[6:7]
	v_mov_b64_e32 v[6:7], v[0:1]
	v_mov_b64_e32 v[8:9], v[18:19]
	s_and_b32 s27, vcc_lo, s19
	s_delay_alu instid0(SALU_CYCLE_1)
	s_and_saveexec_b32 s25, s27
	s_cbranch_execz .LBB22_30
; %bb.25:                               ;   in Loop: Header=BB22_8 Depth=1
	v_mov_b64_e32 v[8:9], v[4:5]
	v_mov_b64_e32 v[30:31], v[12:13]
	;; [unrolled: 1-line block ×4, first 2 shown]
	v_dual_mov_b32 v27, v26 :: v_dual_mov_b32 v29, v28
	s_mov_b32 s26, 0
.LBB22_26:                              ;   Parent Loop BB22_8 Depth=1
                                        ; =>  This Inner Loop Header: Depth=2
	s_clause 0x1
	global_load_b64 v[42:43], v[32:33], off offset:-2052
	global_load_b64 v[44:45], v[32:33], off offset:-4
	v_dual_lshlrev_b32 v41, 3, v8 :: v_dual_lshlrev_b32 v48, 3, v6
	v_add_nc_u64_e32 v[30:31], -2, v[30:31]
	v_add_nc_u64_e32 v[8:9], 0x200, v[8:9]
	ds_load_b64 v[46:47], v41
	ds_load_b64 v[48:49], v48
	v_add_nc_u64_e32 v[6:7], 0x200, v[6:7]
	v_cmp_eq_u64_e32 vcc_lo, 0, v[30:31]
	s_or_b32 s26, vcc_lo, s26
	s_wait_dscnt 0x0
	v_dual_mov_b32 v51, v46 :: v_dual_mov_b32 v46, v49
	v_mov_b32_e32 v50, v48
	s_delay_alu instid0(VALU_DEP_2) | instskip(SKIP_1) | instid1(VALU_DEP_2)
	v_pk_mul_f32 v[48:49], v[28:29], v[46:47]
	v_pk_mul_f32 v[46:47], v[26:27], v[46:47]
	v_pk_fma_f32 v[48:49], v[26:27], v[50:51], v[48:49] neg_lo:[0,0,1] neg_hi:[0,0,1]
	s_delay_alu instid0(VALU_DEP_2) | instskip(SKIP_3) | instid1(VALU_DEP_2)
	v_pk_fma_f32 v[46:47], v[28:29], v[50:51], v[46:47]
	s_wait_loadcnt 0x0
	v_dual_mov_b32 v50, v42 :: v_dual_mov_b32 v51, v44
	v_mov_b32_e32 v44, v43
	v_pk_add_f32 v[42:43], v[50:51], v[48:49]
	s_delay_alu instid0(VALU_DEP_2) | instskip(NEXT) | instid1(VALU_DEP_1)
	v_pk_add_f32 v[44:45], v[46:47], v[44:45]
	v_dual_mov_b32 v46, v42 :: v_dual_mov_b32 v47, v44
	s_delay_alu instid0(VALU_DEP_3)
	v_mov_b32_e32 v44, v43
	s_clause 0x1
	global_store_b64 v[32:33], v[46:47], off offset:-2052
	global_store_b64 v[32:33], v[44:45], off offset:-4
	s_wait_xcnt 0x0
	v_add_nc_u64_e32 v[32:33], 0x1000, v[32:33]
	s_and_not1_b32 exec_lo, exec_lo, s26
	s_cbranch_execnz .LBB22_26
; %bb.27:                               ;   in Loop: Header=BB22_8 Depth=1
	s_or_b32 exec_lo, exec_lo, s26
	s_mov_b32 s26, 0
	s_and_saveexec_b32 s27, s5
; %bb.28:                               ;   in Loop: Header=BB22_8 Depth=1
	s_mov_b32 s26, exec_lo
; %bb.29:                               ;   in Loop: Header=BB22_8 Depth=1
	s_or_b32 exec_lo, exec_lo, s27
	v_mov_b64_e32 v[6:7], v[14:15]
	v_mov_b64_e32 v[8:9], v[24:25]
	s_or_not1_b32 s26, s26, exec_lo
.LBB22_30:                              ;   in Loop: Header=BB22_8 Depth=1
	s_or_b32 exec_lo, exec_lo, s25
	s_delay_alu instid0(SALU_CYCLE_1) | instskip(SKIP_1) | instid1(SALU_CYCLE_1)
	s_and_not1_b32 s25, s18, exec_lo
	s_and_b32 s26, s26, exec_lo
	s_or_b32 s25, s25, s26
.LBB22_31:                              ;   in Loop: Header=BB22_8 Depth=1
	s_or_b32 exec_lo, exec_lo, s24
	s_delay_alu instid0(SALU_CYCLE_1)
	s_and_b32 exec_lo, exec_lo, s25
	s_cbranch_execz .LBB22_7
; %bb.32:                               ;   in Loop: Header=BB22_8 Depth=1
	v_add_nc_u64_e32 v[8:9], s[12:13], v[8:9]
	v_dual_mov_b32 v29, v28 :: v_dual_mov_b32 v27, v26
	v_lshlrev_b32_e32 v30, 3, v6
	s_mov_b32 s24, 0
.LBB22_33:                              ;   Parent Loop BB22_8 Depth=1
                                        ; =>  This Inner Loop Header: Depth=2
	global_load_b64 v[32:33], v[8:9], off
	ds_load_b64 v[42:43], v30
	v_add_nc_u64_e32 v[6:7], 0x100, v[6:7]
	v_add_nc_u32_e32 v30, 0x800, v30
	s_delay_alu instid0(VALU_DEP_2) | instskip(SKIP_3) | instid1(VALU_DEP_1)
	v_cmp_le_i64_e32 vcc_lo, s[8:9], v[6:7]
	s_or_b32 s24, vcc_lo, s24
	s_wait_dscnt 0x0
	v_pk_mul_f32 v[44:45], v[28:29], v[42:43] op_sel:[0,1] op_sel_hi:[1,0]
	v_pk_fma_f32 v[46:47], v[26:27], v[42:43], v[44:45]
	v_pk_fma_f32 v[42:43], v[26:27], v[42:43], v[44:45] neg_lo:[0,0,1] neg_hi:[0,0,1]
	s_delay_alu instid0(VALU_DEP_2) | instskip(SKIP_1) | instid1(VALU_DEP_1)
	v_mov_b32_e32 v43, v47
	s_wait_loadcnt 0x0
	v_pk_add_f32 v[32:33], v[32:33], v[42:43]
	global_store_b64 v[8:9], v[32:33], off
	s_wait_xcnt 0x0
	v_add_nc_u64_e32 v[8:9], 0x800, v[8:9]
	s_and_not1_b32 exec_lo, exec_lo, s24
	s_cbranch_execnz .LBB22_33
	s_branch .LBB22_7
.LBB22_34:
	s_endpgm
	.section	.rodata,"a",@progbits
	.p2align	6, 0x0
	.amdhsa_kernel _ZN9rocsolver6v33100L22larf_left_kernel_smallILi256E19rocblas_complex_numIfElPS3_EEvT1_S5_T2_lS5_lPKT0_lS6_lS5_l
		.amdhsa_group_segment_fixed_size 18432
		.amdhsa_private_segment_fixed_size 0
		.amdhsa_kernarg_size 96
		.amdhsa_user_sgpr_count 2
		.amdhsa_user_sgpr_dispatch_ptr 0
		.amdhsa_user_sgpr_queue_ptr 0
		.amdhsa_user_sgpr_kernarg_segment_ptr 1
		.amdhsa_user_sgpr_dispatch_id 0
		.amdhsa_user_sgpr_kernarg_preload_length 0
		.amdhsa_user_sgpr_kernarg_preload_offset 0
		.amdhsa_user_sgpr_private_segment_size 0
		.amdhsa_wavefront_size32 1
		.amdhsa_uses_dynamic_stack 0
		.amdhsa_enable_private_segment 0
		.amdhsa_system_sgpr_workgroup_id_x 1
		.amdhsa_system_sgpr_workgroup_id_y 1
		.amdhsa_system_sgpr_workgroup_id_z 0
		.amdhsa_system_sgpr_workgroup_info 0
		.amdhsa_system_vgpr_workitem_id 0
		.amdhsa_next_free_vgpr 52
		.amdhsa_next_free_sgpr 30
		.amdhsa_named_barrier_count 0
		.amdhsa_reserve_vcc 1
		.amdhsa_float_round_mode_32 0
		.amdhsa_float_round_mode_16_64 0
		.amdhsa_float_denorm_mode_32 3
		.amdhsa_float_denorm_mode_16_64 3
		.amdhsa_fp16_overflow 0
		.amdhsa_memory_ordered 1
		.amdhsa_forward_progress 1
		.amdhsa_inst_pref_size 16
		.amdhsa_round_robin_scheduling 0
		.amdhsa_exception_fp_ieee_invalid_op 0
		.amdhsa_exception_fp_denorm_src 0
		.amdhsa_exception_fp_ieee_div_zero 0
		.amdhsa_exception_fp_ieee_overflow 0
		.amdhsa_exception_fp_ieee_underflow 0
		.amdhsa_exception_fp_ieee_inexact 0
		.amdhsa_exception_int_div_zero 0
	.end_amdhsa_kernel
	.section	.text._ZN9rocsolver6v33100L22larf_left_kernel_smallILi256E19rocblas_complex_numIfElPS3_EEvT1_S5_T2_lS5_lPKT0_lS6_lS5_l,"axG",@progbits,_ZN9rocsolver6v33100L22larf_left_kernel_smallILi256E19rocblas_complex_numIfElPS3_EEvT1_S5_T2_lS5_lPKT0_lS6_lS5_l,comdat
.Lfunc_end22:
	.size	_ZN9rocsolver6v33100L22larf_left_kernel_smallILi256E19rocblas_complex_numIfElPS3_EEvT1_S5_T2_lS5_lPKT0_lS6_lS5_l, .Lfunc_end22-_ZN9rocsolver6v33100L22larf_left_kernel_smallILi256E19rocblas_complex_numIfElPS3_EEvT1_S5_T2_lS5_lPKT0_lS6_lS5_l
                                        ; -- End function
	.set _ZN9rocsolver6v33100L22larf_left_kernel_smallILi256E19rocblas_complex_numIfElPS3_EEvT1_S5_T2_lS5_lPKT0_lS6_lS5_l.num_vgpr, 52
	.set _ZN9rocsolver6v33100L22larf_left_kernel_smallILi256E19rocblas_complex_numIfElPS3_EEvT1_S5_T2_lS5_lPKT0_lS6_lS5_l.num_agpr, 0
	.set _ZN9rocsolver6v33100L22larf_left_kernel_smallILi256E19rocblas_complex_numIfElPS3_EEvT1_S5_T2_lS5_lPKT0_lS6_lS5_l.numbered_sgpr, 30
	.set _ZN9rocsolver6v33100L22larf_left_kernel_smallILi256E19rocblas_complex_numIfElPS3_EEvT1_S5_T2_lS5_lPKT0_lS6_lS5_l.num_named_barrier, 0
	.set _ZN9rocsolver6v33100L22larf_left_kernel_smallILi256E19rocblas_complex_numIfElPS3_EEvT1_S5_T2_lS5_lPKT0_lS6_lS5_l.private_seg_size, 0
	.set _ZN9rocsolver6v33100L22larf_left_kernel_smallILi256E19rocblas_complex_numIfElPS3_EEvT1_S5_T2_lS5_lPKT0_lS6_lS5_l.uses_vcc, 1
	.set _ZN9rocsolver6v33100L22larf_left_kernel_smallILi256E19rocblas_complex_numIfElPS3_EEvT1_S5_T2_lS5_lPKT0_lS6_lS5_l.uses_flat_scratch, 0
	.set _ZN9rocsolver6v33100L22larf_left_kernel_smallILi256E19rocblas_complex_numIfElPS3_EEvT1_S5_T2_lS5_lPKT0_lS6_lS5_l.has_dyn_sized_stack, 0
	.set _ZN9rocsolver6v33100L22larf_left_kernel_smallILi256E19rocblas_complex_numIfElPS3_EEvT1_S5_T2_lS5_lPKT0_lS6_lS5_l.has_recursion, 0
	.set _ZN9rocsolver6v33100L22larf_left_kernel_smallILi256E19rocblas_complex_numIfElPS3_EEvT1_S5_T2_lS5_lPKT0_lS6_lS5_l.has_indirect_call, 0
	.section	.AMDGPU.csdata,"",@progbits
; Kernel info:
; codeLenInByte = 2048
; TotalNumSgprs: 32
; NumVgprs: 52
; ScratchSize: 0
; MemoryBound: 0
; FloatMode: 240
; IeeeMode: 1
; LDSByteSize: 18432 bytes/workgroup (compile time only)
; SGPRBlocks: 0
; VGPRBlocks: 3
; NumSGPRsForWavesPerEU: 32
; NumVGPRsForWavesPerEU: 52
; NamedBarCnt: 0
; Occupancy: 16
; WaveLimiterHint : 1
; COMPUTE_PGM_RSRC2:SCRATCH_EN: 0
; COMPUTE_PGM_RSRC2:USER_SGPR: 2
; COMPUTE_PGM_RSRC2:TRAP_HANDLER: 0
; COMPUTE_PGM_RSRC2:TGID_X_EN: 1
; COMPUTE_PGM_RSRC2:TGID_Y_EN: 1
; COMPUTE_PGM_RSRC2:TGID_Z_EN: 0
; COMPUTE_PGM_RSRC2:TIDIG_COMP_CNT: 0
	.section	.text._ZN9rocsolver6v33100L22larf_left_kernel_smallILi512E19rocblas_complex_numIfElPS3_EEvT1_S5_T2_lS5_lPKT0_lS6_lS5_l,"axG",@progbits,_ZN9rocsolver6v33100L22larf_left_kernel_smallILi512E19rocblas_complex_numIfElPS3_EEvT1_S5_T2_lS5_lPKT0_lS6_lS5_l,comdat
	.globl	_ZN9rocsolver6v33100L22larf_left_kernel_smallILi512E19rocblas_complex_numIfElPS3_EEvT1_S5_T2_lS5_lPKT0_lS6_lS5_l ; -- Begin function _ZN9rocsolver6v33100L22larf_left_kernel_smallILi512E19rocblas_complex_numIfElPS3_EEvT1_S5_T2_lS5_lPKT0_lS6_lS5_l
	.p2align	8
	.type	_ZN9rocsolver6v33100L22larf_left_kernel_smallILi512E19rocblas_complex_numIfElPS3_EEvT1_S5_T2_lS5_lPKT0_lS6_lS5_l,@function
_ZN9rocsolver6v33100L22larf_left_kernel_smallILi512E19rocblas_complex_numIfElPS3_EEvT1_S5_T2_lS5_lPKT0_lS6_lS5_l: ; @_ZN9rocsolver6v33100L22larf_left_kernel_smallILi512E19rocblas_complex_numIfElPS3_EEvT1_S5_T2_lS5_lPKT0_lS6_lS5_l
; %bb.0:
	s_load_b512 s[8:23], s[0:1], 0x0
	s_mov_b64 s[6:7], 0
	s_wait_kmcnt 0x0
	v_cmp_gt_i64_e64 s2, s[16:17], 0
	s_and_b32 vcc_lo, exec_lo, s2
	s_cbranch_vccnz .LBB23_2
; %bb.1:
	s_sub_nc_u64 s[2:3], 1, s[8:9]
	s_delay_alu instid0(SALU_CYCLE_1)
	s_mul_u64 s[6:7], s[16:17], s[2:3]
.LBB23_2:
	s_bfe_u32 s2, ttmp6, 0x4000c
	v_dual_mov_b32 v1, 0 :: v_dual_lshlrev_b32 v34, 3, v0
	s_add_co_i32 s2, s2, 1
	s_and_b32 s3, ttmp6, 15
	s_mul_i32 s4, ttmp9, s2
	s_delay_alu instid0(VALU_DEP_1)
	v_cmp_gt_i64_e64 s2, s[8:9], v[0:1]
	s_add_co_i32 s4, s3, s4
	s_getreg_b32 s3, hwreg(HW_REG_IB_STS2, 6, 4)
	s_mov_b32 s5, 0
	s_cmp_eq_u32 s3, 0
	s_cselect_b32 s4, ttmp9, s4
	s_and_saveexec_b32 s24, s2
	s_cbranch_execz .LBB23_5
; %bb.3:
	v_mul_u64_e32 v[2:3], s[16:17], v[0:1]
	s_lshl_b64 s[14:15], s[14:15], 3
	s_mul_u64 s[18:19], s[18:19], s[4:5]
	s_lshl_b64 s[6:7], s[6:7], 3
	s_add_nc_u64 s[12:13], s[12:13], s[14:15]
	s_lshl_b64 s[14:15], s[18:19], 3
	s_add_nc_u64 s[6:7], s[12:13], s[6:7]
	v_mov_b64_e32 v[4:5], v[0:1]
	s_add_nc_u64 s[6:7], s[6:7], s[14:15]
	v_lshlrev_b32_e32 v6, 3, v0
	s_mov_b32 s12, s5
	s_delay_alu instid0(VALU_DEP_3)
	v_lshl_add_u64 v[2:3], v[2:3], 3, s[6:7]
	s_lshl_b64 s[6:7], s[16:17], 12
.LBB23_4:                               ; =>This Inner Loop Header: Depth=1
	global_load_b64 v[8:9], v[2:3], off
	v_add_nc_u64_e32 v[4:5], 0x200, v[4:5]
	s_wait_xcnt 0x0
	v_add_nc_u64_e32 v[2:3], s[6:7], v[2:3]
	s_delay_alu instid0(VALU_DEP_2)
	v_cmp_le_i64_e32 vcc_lo, s[8:9], v[4:5]
	s_or_b32 s12, vcc_lo, s12
	s_wait_loadcnt 0x0
	ds_store_b64 v6, v[8:9]
	v_add_nc_u32_e32 v6, 0x1000, v6
	s_and_not1_b32 exec_lo, exec_lo, s12
	s_cbranch_execnz .LBB23_4
.LBB23_5:
	s_or_b32 exec_lo, exec_lo, s24
	s_bfe_u32 s6, ttmp6, 0x40010
	s_bfe_u32 s7, ttmp6, 0x40004
	s_add_co_i32 s6, s6, 1
	s_wait_dscnt 0x0
	s_mul_i32 s6, ttmp7, s6
	s_barrier_signal -1
	s_add_co_i32 s6, s7, s6
	s_cmp_eq_u32 s3, 0
	s_mov_b32 s7, 0
	s_cselect_b32 s6, ttmp7, s6
	s_barrier_wait -1
	v_cmp_le_i64_e64 s3, s[10:11], s[6:7]
	s_and_b32 vcc_lo, exec_lo, s3
	s_cbranch_vccnz .LBB23_34
; %bb.6:
	v_mov_b32_e32 v3, -1
	v_not_b32_e32 v2, v0
	s_load_b256 s[12:19], s[0:1], 0x40
	s_mul_u64 s[22:23], s[22:23], s[4:5]
	v_lshrrev_b32_e32 v24, 2, v0
	s_lshl_b64 s[22:23], s[22:23], 3
	v_add_nc_u64_e32 v[4:5], s[8:9], v[2:3]
	v_mov_b32_e32 v3, 0
	s_cmp_gt_i32 s8, 1
	s_add_nc_u64 s[20:21], s[20:21], s[22:23]
	s_cselect_b32 s22, -1, 0
	s_delay_alu instid0(VALU_DEP_1) | instskip(NEXT) | instid1(VALU_DEP_3)
	v_dual_mov_b32 v19, v3 :: v_dual_lshlrev_b32 v18, 3, v0
	v_lshrrev_b64 v[6:7], 9, v[4:5]
	v_and_b32_e32 v2, 31, v0
	v_lshlrev_b64_e32 v[10:11], 3, v[4:5]
	v_mbcnt_lo_u32_b32 v35, -1, 0
	v_or_b32_e32 v37, 0x4000, v24
	s_wait_xcnt 0x0
	v_cmp_gt_i32_e64 s0, s8, v0
	v_cmp_eq_u32_e64 s3, 0, v2
	v_add_nc_u64_e32 v[6:7], 1, v[6:7]
	v_cmp_eq_u32_e64 s1, 0, v0
	s_wait_kmcnt 0x0
	s_mul_u64 s[24:25], s[18:19], s[4:5]
	s_mul_u64 s[26:27], s[16:17], s[6:7]
	v_cmp_gt_u64_e64 s18, 0x600, v[4:5]
	s_add_nc_u64 s[28:29], s[24:25], s[26:27]
	s_lshl_b64 s[24:25], s[24:25], 3
	s_add_nc_u64 s[28:29], s[28:29], s[14:15]
	v_dual_mov_b32 v13, v7 :: v_dual_bitop2_b32 v12, -2, v6 bitop3:0x40
	v_add_nc_u64_e32 v[8:9], s[28:29], v[0:1]
	s_lshl_b64 s[26:27], s[26:27], 3
	s_lshl_b64 s[14:15], s[14:15], 3
	s_add_nc_u64 s[24:25], s[24:25], s[26:27]
	v_lshlrev_b64_e32 v[14:15], 9, v[12:13]
	s_add_nc_u64 s[14:15], s[24:25], s[14:15]
	s_mov_b64 s[24:25], 0x1fffffffffffffff
	v_lshl_add_u64 v[16:17], v[8:9], 3, s[12:13]
	s_add_nc_u64 s[12:13], s[12:13], s[14:15]
	v_cmp_lt_u64_e32 vcc_lo, s[24:25], v[4:5]
	v_add_nc_u64_e32 v[20:21], s[12:13], v[18:19]
	v_dual_mov_b32 v2, v0 :: v_dual_bitop2_b32 v14, v14, v0 bitop3:0x54
	v_cmp_lt_u64_e64 s4, 0x5ff, v[4:5]
	v_cmp_ne_u64_e64 s5, v[6:7], v[12:13]
	v_and_b32_e32 v10, 0xfffff000, v10
	s_delay_alu instid0(VALU_DEP_4)
	v_lshlrev_b64_e32 v[24:25], 3, v[14:15]
	v_add_nc_u64_e32 v[22:23], 0x1004, v[20:21]
	v_or_b32_e32 v4, 0x200, v0
	v_dual_mov_b32 v5, v3 :: v_dual_mov_b32 v38, 0x4008
	v_lshl_or_b32 v36, v35, 2, 64
	v_mov_b32_e32 v39, 0x4018
	v_mov_b32_e32 v40, 0x4028
	;; [unrolled: 1-line block ×6, first 2 shown]
	s_lshl_b64 s[14:15], s[16:17], 9
	s_mov_b64 s[16:17], 0
	s_xor_b32 s19, vcc_lo, -1
	s_branch .LBB23_8
.LBB23_7:                               ;   in Loop: Header=BB23_8 Depth=1
	s_or_b32 exec_lo, exec_lo, s23
	s_add_nc_u64 s[6:7], s[6:7], 64
	v_add_nc_u64_e32 v[20:21], s[14:15], v[20:21]
	v_cmp_ge_i64_e64 s23, s[6:7], s[10:11]
	v_add_nc_u64_e32 v[22:23], s[14:15], v[22:23]
	s_add_nc_u64 s[16:17], s[16:17], 1
	s_add_nc_u64 s[12:13], s[12:13], s[14:15]
	s_and_b32 vcc_lo, exec_lo, s23
	s_cbranch_vccnz .LBB23_34
.LBB23_8:                               ; =>This Loop Header: Depth=1
                                        ;     Child Loop BB23_10 Depth 2
                                        ;     Child Loop BB23_26 Depth 2
	;; [unrolled: 1-line block ×3, first 2 shown]
	v_mov_b64_e32 v[6:7], 0
	s_and_saveexec_b32 s23, s0
	s_cbranch_execz .LBB23_12
; %bb.9:                                ;   in Loop: Header=BB23_8 Depth=1
	v_dual_mov_b32 v6, 0 :: v_dual_mov_b32 v26, v34
	v_mov_b64_e32 v[8:9], v[20:21]
	v_mov_b32_e32 v27, v0
	s_mov_b32 s24, 0
	s_delay_alu instid0(VALU_DEP_3)
	v_mov_b32_e32 v7, v6
.LBB23_10:                              ;   Parent Loop BB23_8 Depth=1
                                        ; =>  This Inner Loop Header: Depth=2
	global_load_b64 v[28:29], v[8:9], off
	ds_load_b64 v[30:31], v26
	s_wait_xcnt 0x0
	v_add_nc_u64_e32 v[8:9], 0x1000, v[8:9]
	v_add_nc_u32_e32 v27, 0x200, v27
	v_add_nc_u32_e32 v26, 0x1000, v26
	s_delay_alu instid0(VALU_DEP_2)
	v_cmp_le_i32_e32 vcc_lo, s8, v27
	s_or_b32 s24, vcc_lo, s24
	s_wait_dscnt 0x0
	v_mov_b32_e32 v46, v31
	s_wait_loadcnt 0x0
	v_pk_mul_f32 v[32:33], v[28:29], v[30:31] op_sel_hi:[1,0]
	s_delay_alu instid0(VALU_DEP_1) | instskip(NEXT) | instid1(VALU_DEP_3)
	v_pk_fma_f32 v[30:31], v[28:29], v[30:31], v[32:33] op_sel:[1,1,0] op_sel_hi:[0,1,1] neg_lo:[0,0,1] neg_hi:[0,0,1]
	v_pk_fma_f32 v[28:29], v[28:29], v[46:47], v[32:33] op_sel:[1,0,0] op_sel_hi:[0,1,1]
	s_delay_alu instid0(VALU_DEP_2) | instskip(NEXT) | instid1(VALU_DEP_1)
	v_mov_b32_e32 v29, v31
	v_pk_add_f32 v[6:7], v[6:7], v[28:29]
	s_and_not1_b32 exec_lo, exec_lo, s24
	s_cbranch_execnz .LBB23_10
; %bb.11:                               ;   in Loop: Header=BB23_8 Depth=1
	s_or_b32 exec_lo, exec_lo, s24
.LBB23_12:                              ;   in Loop: Header=BB23_8 Depth=1
	s_delay_alu instid0(SALU_CYCLE_1) | instskip(NEXT) | instid1(SALU_CYCLE_1)
	s_or_b32 exec_lo, exec_lo, s23
	s_and_b32 vcc_lo, exec_lo, s22
	s_cbranch_vccz .LBB23_19
; %bb.13:                               ;   in Loop: Header=BB23_8 Depth=1
	v_cmp_ne_u32_e32 vcc_lo, 31, v35
	v_add_co_ci_u32_e64 v8, null, 0, v35, vcc_lo
	v_cmp_gt_u32_e32 vcc_lo, 30, v35
	s_delay_alu instid0(VALU_DEP_2)
	v_lshlrev_b32_e32 v9, 2, v8
	v_cndmask_b32_e64 v26, 0, 2, vcc_lo
	v_cmp_gt_u32_e32 vcc_lo, 28, v35
	ds_bpermute_b32 v8, v9, v6
	ds_bpermute_b32 v9, v9, v7
	v_add_lshl_u32 v27, v26, v35, 2
	v_cndmask_b32_e64 v28, 0, 4, vcc_lo
	v_cmp_gt_u32_e32 vcc_lo, 24, v35
	s_delay_alu instid0(VALU_DEP_2)
	v_add_lshl_u32 v28, v28, v35, 2
	s_wait_dscnt 0x0
	v_pk_add_f32 v[8:9], v[6:7], v[8:9]
	ds_bpermute_b32 v26, v27, v8
	ds_bpermute_b32 v27, v27, v9
	s_wait_dscnt 0x0
	v_pk_add_f32 v[8:9], v[8:9], v[26:27]
	ds_bpermute_b32 v26, v28, v8
	ds_bpermute_b32 v27, v28, v9
	v_cndmask_b32_e64 v28, 0, 8, vcc_lo
	s_delay_alu instid0(VALU_DEP_1)
	v_add_lshl_u32 v28, v28, v35, 2
	s_wait_dscnt 0x0
	v_pk_add_f32 v[8:9], v[8:9], v[26:27]
	ds_bpermute_b32 v26, v28, v8
	ds_bpermute_b32 v27, v28, v9
	s_wait_dscnt 0x0
	v_pk_add_f32 v[8:9], v[8:9], v[26:27]
	ds_bpermute_b32 v26, v36, v8
	ds_bpermute_b32 v27, v36, v9
	s_wait_dscnt 0x0
	v_pk_add_f32 v[8:9], v[8:9], v[26:27]
	s_and_saveexec_b32 s23, s3
; %bb.14:                               ;   in Loop: Header=BB23_8 Depth=1
	ds_store_2addr_b32 v37, v8, v9 offset1:1
; %bb.15:                               ;   in Loop: Header=BB23_8 Depth=1
	s_or_b32 exec_lo, exec_lo, s23
	s_mov_b32 s24, 0
	s_mov_b32 s23, 0
	s_wait_dscnt 0x0
	s_barrier_signal -1
	s_barrier_wait -1
                                        ; implicit-def: $vgpr26_vgpr27
	s_and_saveexec_b32 s25, s1
	s_delay_alu instid0(SALU_CYCLE_1)
	s_xor_b32 s25, exec_lo, s25
	s_cbranch_execz .LBB23_17
; %bb.16:                               ;   in Loop: Header=BB23_8 Depth=1
	ds_load_2addr_b64 v[26:29], v38 offset1:1
	ds_load_2addr_b64 v[30:33], v39 offset1:1
	;; [unrolled: 1-line block ×3, first 2 shown]
	s_mov_b32 s23, exec_lo
	s_wait_dscnt 0x2
	v_pk_add_f32 v[8:9], v[8:9], v[26:27]
	s_delay_alu instid0(VALU_DEP_1) | instskip(SKIP_3) | instid1(VALU_DEP_1)
	v_pk_add_f32 v[8:9], v[8:9], v[28:29]
	ds_load_2addr_b64 v[26:29], v41 offset1:1
	s_wait_dscnt 0x2
	v_pk_add_f32 v[8:9], v[8:9], v[30:31]
	v_pk_add_f32 v[8:9], v[8:9], v[32:33]
	ds_load_2addr_b64 v[30:33], v42 offset1:1
	s_wait_dscnt 0x2
	v_pk_add_f32 v[8:9], v[8:9], v[46:47]
	s_delay_alu instid0(VALU_DEP_1) | instskip(SKIP_3) | instid1(VALU_DEP_1)
	v_pk_add_f32 v[8:9], v[8:9], v[48:49]
	ds_load_2addr_b64 v[46:49], v43 offset1:1
	s_wait_dscnt 0x2
	v_pk_add_f32 v[8:9], v[8:9], v[26:27]
	v_pk_add_f32 v[8:9], v[8:9], v[28:29]
	ds_load_2addr_b64 v[26:29], v44 offset1:1
	s_wait_dscnt 0x2
	v_pk_add_f32 v[8:9], v[8:9], v[30:31]
	ds_load_b64 v[30:31], v3 offset:16504
	v_pk_add_f32 v[8:9], v[8:9], v[32:33]
	s_wait_dscnt 0x2
	s_delay_alu instid0(VALU_DEP_1) | instskip(NEXT) | instid1(VALU_DEP_1)
	v_pk_add_f32 v[8:9], v[8:9], v[46:47]
	v_pk_add_f32 v[8:9], v[8:9], v[48:49]
	s_wait_dscnt 0x1
	s_delay_alu instid0(VALU_DEP_1) | instskip(NEXT) | instid1(VALU_DEP_1)
	v_pk_add_f32 v[8:9], v[8:9], v[26:27]
	v_pk_add_f32 v[8:9], v[8:9], v[28:29]
	s_wait_dscnt 0x0
	s_delay_alu instid0(VALU_DEP_1)
	v_pk_add_f32 v[26:27], v[8:9], v[30:31]
.LBB23_17:                              ;   in Loop: Header=BB23_8 Depth=1
	s_or_b32 exec_lo, exec_lo, s25
	s_delay_alu instid0(SALU_CYCLE_1)
	s_and_b32 vcc_lo, exec_lo, s24
	s_cbranch_vccnz .LBB23_20
.LBB23_18:                              ;   in Loop: Header=BB23_8 Depth=1
	s_delay_alu instid0(VALU_DEP_1)
	v_mov_b64_e32 v[6:7], v[26:27]
	s_and_saveexec_b32 s24, s23
	s_cbranch_execnz .LBB23_21
	s_branch .LBB23_22
.LBB23_19:                              ;   in Loop: Header=BB23_8 Depth=1
	s_mov_b32 s23, 0
                                        ; implicit-def: $vgpr26_vgpr27
	s_cbranch_execz .LBB23_18
.LBB23_20:                              ;   in Loop: Header=BB23_8 Depth=1
	s_and_not1_b32 s23, s23, exec_lo
	s_and_b32 s24, s1, exec_lo
	s_delay_alu instid0(SALU_CYCLE_1) | instskip(NEXT) | instid1(SALU_CYCLE_1)
	s_or_b32 s23, s23, s24
	s_and_saveexec_b32 s24, s23
.LBB23_21:                              ;   in Loop: Header=BB23_8 Depth=1
	ds_store_b64 v3, v[6:7] offset:16384
.LBB23_22:                              ;   in Loop: Header=BB23_8 Depth=1
	s_or_b32 exec_lo, exec_lo, s24
	s_wait_dscnt 0x0
	s_barrier_signal -1
	s_barrier_wait -1
	s_and_saveexec_b32 s23, s2
	s_cbranch_execz .LBB23_7
; %bb.23:                               ;   in Loop: Header=BB23_8 Depth=1
	global_load_b64 v[8:9], v3, s[20:21]
	ds_load_b64 v[30:31], v3 offset:16384
	s_mov_b32 s25, s18
	s_wait_loadcnt_dscnt 0x0
	v_dual_mul_f32 v6, v9, v31 :: v_dual_mul_f32 v7, v9, v30
	v_xor_b32_e32 v9, 0x80000000, v8
	s_delay_alu instid0(VALU_DEP_2) | instskip(NEXT) | instid1(VALU_DEP_3)
	v_xor_b32_e32 v26, 0x80000000, v6
	v_xor_b32_e32 v28, 0x80000000, v7
	v_mov_b64_e32 v[6:7], v[0:1]
	s_delay_alu instid0(VALU_DEP_2)
	v_dual_fmac_f32 v26, v30, v9 :: v_dual_fmac_f32 v28, v8, v31
	v_mov_b64_e32 v[8:9], v[18:19]
	s_wait_xcnt 0x0
	s_and_saveexec_b32 s24, s4
	s_cbranch_execz .LBB23_31
; %bb.24:                               ;   in Loop: Header=BB23_8 Depth=1
	v_mad_nc_u64_u32 v[6:7], s14, s16, v[16:17]
	s_mul_i32 s25, s15, s16
	s_mul_i32 s26, s14, s17
	s_delay_alu instid0(VALU_DEP_1) | instid1(SALU_CYCLE_1)
	v_add3_u32 v7, s26, s25, v7
	s_mov_b32 s26, -1
	s_delay_alu instid0(VALU_DEP_1) | instskip(NEXT) | instid1(VALU_DEP_1)
	v_add_nc_u64_e32 v[8:9], v[6:7], v[10:11]
	v_cmp_ge_u64_e32 vcc_lo, v[8:9], v[6:7]
	v_mov_b64_e32 v[6:7], v[0:1]
	v_mov_b64_e32 v[8:9], v[18:19]
	s_and_b32 s27, vcc_lo, s19
	s_delay_alu instid0(SALU_CYCLE_1)
	s_and_saveexec_b32 s25, s27
	s_cbranch_execz .LBB23_30
; %bb.25:                               ;   in Loop: Header=BB23_8 Depth=1
	v_mov_b64_e32 v[8:9], v[4:5]
	v_mov_b64_e32 v[30:31], v[12:13]
	;; [unrolled: 1-line block ×4, first 2 shown]
	v_dual_mov_b32 v27, v26 :: v_dual_mov_b32 v29, v28
	s_mov_b32 s26, 0
.LBB23_26:                              ;   Parent Loop BB23_8 Depth=1
                                        ; =>  This Inner Loop Header: Depth=2
	s_clause 0x1
	global_load_b64 v[46:47], v[32:33], off offset:-4100
	global_load_b64 v[48:49], v[32:33], off offset:-4
	v_dual_lshlrev_b32 v45, 3, v8 :: v_dual_lshlrev_b32 v52, 3, v6
	v_add_nc_u64_e32 v[30:31], -2, v[30:31]
	v_add_nc_u64_e32 v[8:9], 0x400, v[8:9]
	ds_load_b64 v[50:51], v45
	ds_load_b64 v[52:53], v52
	v_add_nc_u64_e32 v[6:7], 0x400, v[6:7]
	v_cmp_eq_u64_e32 vcc_lo, 0, v[30:31]
	s_or_b32 s26, vcc_lo, s26
	s_wait_dscnt 0x0
	v_dual_mov_b32 v55, v50 :: v_dual_mov_b32 v50, v53
	v_mov_b32_e32 v54, v52
	s_delay_alu instid0(VALU_DEP_2) | instskip(SKIP_1) | instid1(VALU_DEP_2)
	v_pk_mul_f32 v[52:53], v[28:29], v[50:51]
	v_pk_mul_f32 v[50:51], v[26:27], v[50:51]
	v_pk_fma_f32 v[52:53], v[26:27], v[54:55], v[52:53] neg_lo:[0,0,1] neg_hi:[0,0,1]
	s_delay_alu instid0(VALU_DEP_2) | instskip(SKIP_3) | instid1(VALU_DEP_2)
	v_pk_fma_f32 v[50:51], v[28:29], v[54:55], v[50:51]
	s_wait_loadcnt 0x0
	v_dual_mov_b32 v54, v46 :: v_dual_mov_b32 v55, v48
	v_mov_b32_e32 v48, v47
	v_pk_add_f32 v[46:47], v[54:55], v[52:53]
	s_delay_alu instid0(VALU_DEP_2) | instskip(NEXT) | instid1(VALU_DEP_1)
	v_pk_add_f32 v[48:49], v[50:51], v[48:49]
	v_dual_mov_b32 v50, v46 :: v_dual_mov_b32 v51, v48
	s_delay_alu instid0(VALU_DEP_3)
	v_mov_b32_e32 v48, v47
	s_clause 0x1
	global_store_b64 v[32:33], v[50:51], off offset:-4100
	global_store_b64 v[32:33], v[48:49], off offset:-4
	s_wait_xcnt 0x0
	v_add_nc_u64_e32 v[32:33], 0x2000, v[32:33]
	s_and_not1_b32 exec_lo, exec_lo, s26
	s_cbranch_execnz .LBB23_26
; %bb.27:                               ;   in Loop: Header=BB23_8 Depth=1
	s_or_b32 exec_lo, exec_lo, s26
	s_mov_b32 s26, 0
	s_and_saveexec_b32 s27, s5
; %bb.28:                               ;   in Loop: Header=BB23_8 Depth=1
	s_mov_b32 s26, exec_lo
; %bb.29:                               ;   in Loop: Header=BB23_8 Depth=1
	s_or_b32 exec_lo, exec_lo, s27
	v_mov_b64_e32 v[6:7], v[14:15]
	v_mov_b64_e32 v[8:9], v[24:25]
	s_or_not1_b32 s26, s26, exec_lo
.LBB23_30:                              ;   in Loop: Header=BB23_8 Depth=1
	s_or_b32 exec_lo, exec_lo, s25
	s_delay_alu instid0(SALU_CYCLE_1) | instskip(SKIP_1) | instid1(SALU_CYCLE_1)
	s_and_not1_b32 s25, s18, exec_lo
	s_and_b32 s26, s26, exec_lo
	s_or_b32 s25, s25, s26
.LBB23_31:                              ;   in Loop: Header=BB23_8 Depth=1
	s_or_b32 exec_lo, exec_lo, s24
	s_delay_alu instid0(SALU_CYCLE_1)
	s_and_b32 exec_lo, exec_lo, s25
	s_cbranch_execz .LBB23_7
; %bb.32:                               ;   in Loop: Header=BB23_8 Depth=1
	v_add_nc_u64_e32 v[8:9], s[12:13], v[8:9]
	v_dual_mov_b32 v29, v28 :: v_dual_mov_b32 v27, v26
	v_lshlrev_b32_e32 v30, 3, v6
	s_mov_b32 s24, 0
.LBB23_33:                              ;   Parent Loop BB23_8 Depth=1
                                        ; =>  This Inner Loop Header: Depth=2
	global_load_b64 v[32:33], v[8:9], off
	ds_load_b64 v[46:47], v30
	v_add_nc_u64_e32 v[6:7], 0x200, v[6:7]
	v_add_nc_u32_e32 v30, 0x1000, v30
	s_delay_alu instid0(VALU_DEP_2) | instskip(SKIP_3) | instid1(VALU_DEP_1)
	v_cmp_le_i64_e32 vcc_lo, s[8:9], v[6:7]
	s_or_b32 s24, vcc_lo, s24
	s_wait_dscnt 0x0
	v_pk_mul_f32 v[48:49], v[28:29], v[46:47] op_sel:[0,1] op_sel_hi:[1,0]
	v_pk_fma_f32 v[50:51], v[26:27], v[46:47], v[48:49]
	v_pk_fma_f32 v[46:47], v[26:27], v[46:47], v[48:49] neg_lo:[0,0,1] neg_hi:[0,0,1]
	s_delay_alu instid0(VALU_DEP_2) | instskip(SKIP_1) | instid1(VALU_DEP_1)
	v_mov_b32_e32 v47, v51
	s_wait_loadcnt 0x0
	v_pk_add_f32 v[32:33], v[32:33], v[46:47]
	global_store_b64 v[8:9], v[32:33], off
	s_wait_xcnt 0x0
	v_add_nc_u64_e32 v[8:9], 0x1000, v[8:9]
	s_and_not1_b32 exec_lo, exec_lo, s24
	s_cbranch_execnz .LBB23_33
	s_branch .LBB23_7
.LBB23_34:
	s_endpgm
	.section	.rodata,"a",@progbits
	.p2align	6, 0x0
	.amdhsa_kernel _ZN9rocsolver6v33100L22larf_left_kernel_smallILi512E19rocblas_complex_numIfElPS3_EEvT1_S5_T2_lS5_lPKT0_lS6_lS5_l
		.amdhsa_group_segment_fixed_size 20480
		.amdhsa_private_segment_fixed_size 0
		.amdhsa_kernarg_size 96
		.amdhsa_user_sgpr_count 2
		.amdhsa_user_sgpr_dispatch_ptr 0
		.amdhsa_user_sgpr_queue_ptr 0
		.amdhsa_user_sgpr_kernarg_segment_ptr 1
		.amdhsa_user_sgpr_dispatch_id 0
		.amdhsa_user_sgpr_kernarg_preload_length 0
		.amdhsa_user_sgpr_kernarg_preload_offset 0
		.amdhsa_user_sgpr_private_segment_size 0
		.amdhsa_wavefront_size32 1
		.amdhsa_uses_dynamic_stack 0
		.amdhsa_enable_private_segment 0
		.amdhsa_system_sgpr_workgroup_id_x 1
		.amdhsa_system_sgpr_workgroup_id_y 1
		.amdhsa_system_sgpr_workgroup_id_z 0
		.amdhsa_system_sgpr_workgroup_info 0
		.amdhsa_system_vgpr_workitem_id 0
		.amdhsa_next_free_vgpr 56
		.amdhsa_next_free_sgpr 30
		.amdhsa_named_barrier_count 0
		.amdhsa_reserve_vcc 1
		.amdhsa_float_round_mode_32 0
		.amdhsa_float_round_mode_16_64 0
		.amdhsa_float_denorm_mode_32 3
		.amdhsa_float_denorm_mode_16_64 3
		.amdhsa_fp16_overflow 0
		.amdhsa_memory_ordered 1
		.amdhsa_forward_progress 1
		.amdhsa_inst_pref_size 18
		.amdhsa_round_robin_scheduling 0
		.amdhsa_exception_fp_ieee_invalid_op 0
		.amdhsa_exception_fp_denorm_src 0
		.amdhsa_exception_fp_ieee_div_zero 0
		.amdhsa_exception_fp_ieee_overflow 0
		.amdhsa_exception_fp_ieee_underflow 0
		.amdhsa_exception_fp_ieee_inexact 0
		.amdhsa_exception_int_div_zero 0
	.end_amdhsa_kernel
	.section	.text._ZN9rocsolver6v33100L22larf_left_kernel_smallILi512E19rocblas_complex_numIfElPS3_EEvT1_S5_T2_lS5_lPKT0_lS6_lS5_l,"axG",@progbits,_ZN9rocsolver6v33100L22larf_left_kernel_smallILi512E19rocblas_complex_numIfElPS3_EEvT1_S5_T2_lS5_lPKT0_lS6_lS5_l,comdat
.Lfunc_end23:
	.size	_ZN9rocsolver6v33100L22larf_left_kernel_smallILi512E19rocblas_complex_numIfElPS3_EEvT1_S5_T2_lS5_lPKT0_lS6_lS5_l, .Lfunc_end23-_ZN9rocsolver6v33100L22larf_left_kernel_smallILi512E19rocblas_complex_numIfElPS3_EEvT1_S5_T2_lS5_lPKT0_lS6_lS5_l
                                        ; -- End function
	.set _ZN9rocsolver6v33100L22larf_left_kernel_smallILi512E19rocblas_complex_numIfElPS3_EEvT1_S5_T2_lS5_lPKT0_lS6_lS5_l.num_vgpr, 56
	.set _ZN9rocsolver6v33100L22larf_left_kernel_smallILi512E19rocblas_complex_numIfElPS3_EEvT1_S5_T2_lS5_lPKT0_lS6_lS5_l.num_agpr, 0
	.set _ZN9rocsolver6v33100L22larf_left_kernel_smallILi512E19rocblas_complex_numIfElPS3_EEvT1_S5_T2_lS5_lPKT0_lS6_lS5_l.numbered_sgpr, 30
	.set _ZN9rocsolver6v33100L22larf_left_kernel_smallILi512E19rocblas_complex_numIfElPS3_EEvT1_S5_T2_lS5_lPKT0_lS6_lS5_l.num_named_barrier, 0
	.set _ZN9rocsolver6v33100L22larf_left_kernel_smallILi512E19rocblas_complex_numIfElPS3_EEvT1_S5_T2_lS5_lPKT0_lS6_lS5_l.private_seg_size, 0
	.set _ZN9rocsolver6v33100L22larf_left_kernel_smallILi512E19rocblas_complex_numIfElPS3_EEvT1_S5_T2_lS5_lPKT0_lS6_lS5_l.uses_vcc, 1
	.set _ZN9rocsolver6v33100L22larf_left_kernel_smallILi512E19rocblas_complex_numIfElPS3_EEvT1_S5_T2_lS5_lPKT0_lS6_lS5_l.uses_flat_scratch, 0
	.set _ZN9rocsolver6v33100L22larf_left_kernel_smallILi512E19rocblas_complex_numIfElPS3_EEvT1_S5_T2_lS5_lPKT0_lS6_lS5_l.has_dyn_sized_stack, 0
	.set _ZN9rocsolver6v33100L22larf_left_kernel_smallILi512E19rocblas_complex_numIfElPS3_EEvT1_S5_T2_lS5_lPKT0_lS6_lS5_l.has_recursion, 0
	.set _ZN9rocsolver6v33100L22larf_left_kernel_smallILi512E19rocblas_complex_numIfElPS3_EEvT1_S5_T2_lS5_lPKT0_lS6_lS5_l.has_indirect_call, 0
	.section	.AMDGPU.csdata,"",@progbits
; Kernel info:
; codeLenInByte = 2200
; TotalNumSgprs: 32
; NumVgprs: 56
; ScratchSize: 0
; MemoryBound: 0
; FloatMode: 240
; IeeeMode: 1
; LDSByteSize: 20480 bytes/workgroup (compile time only)
; SGPRBlocks: 0
; VGPRBlocks: 3
; NumSGPRsForWavesPerEU: 32
; NumVGPRsForWavesPerEU: 56
; NamedBarCnt: 0
; Occupancy: 16
; WaveLimiterHint : 1
; COMPUTE_PGM_RSRC2:SCRATCH_EN: 0
; COMPUTE_PGM_RSRC2:USER_SGPR: 2
; COMPUTE_PGM_RSRC2:TRAP_HANDLER: 0
; COMPUTE_PGM_RSRC2:TGID_X_EN: 1
; COMPUTE_PGM_RSRC2:TGID_Y_EN: 1
; COMPUTE_PGM_RSRC2:TGID_Z_EN: 0
; COMPUTE_PGM_RSRC2:TIDIG_COMP_CNT: 0
	.section	.text._ZN9rocsolver6v33100L22larf_left_kernel_smallILi1024E19rocblas_complex_numIfElPS3_EEvT1_S5_T2_lS5_lPKT0_lS6_lS5_l,"axG",@progbits,_ZN9rocsolver6v33100L22larf_left_kernel_smallILi1024E19rocblas_complex_numIfElPS3_EEvT1_S5_T2_lS5_lPKT0_lS6_lS5_l,comdat
	.globl	_ZN9rocsolver6v33100L22larf_left_kernel_smallILi1024E19rocblas_complex_numIfElPS3_EEvT1_S5_T2_lS5_lPKT0_lS6_lS5_l ; -- Begin function _ZN9rocsolver6v33100L22larf_left_kernel_smallILi1024E19rocblas_complex_numIfElPS3_EEvT1_S5_T2_lS5_lPKT0_lS6_lS5_l
	.p2align	8
	.type	_ZN9rocsolver6v33100L22larf_left_kernel_smallILi1024E19rocblas_complex_numIfElPS3_EEvT1_S5_T2_lS5_lPKT0_lS6_lS5_l,@function
_ZN9rocsolver6v33100L22larf_left_kernel_smallILi1024E19rocblas_complex_numIfElPS3_EEvT1_S5_T2_lS5_lPKT0_lS6_lS5_l: ; @_ZN9rocsolver6v33100L22larf_left_kernel_smallILi1024E19rocblas_complex_numIfElPS3_EEvT1_S5_T2_lS5_lPKT0_lS6_lS5_l
; %bb.0:
	s_load_b512 s[8:23], s[0:1], 0x0
	s_mov_b64 s[6:7], 0
	s_wait_kmcnt 0x0
	v_cmp_gt_i64_e64 s2, s[16:17], 0
	s_and_b32 vcc_lo, exec_lo, s2
	s_cbranch_vccnz .LBB24_2
; %bb.1:
	s_sub_nc_u64 s[2:3], 1, s[8:9]
	s_delay_alu instid0(SALU_CYCLE_1)
	s_mul_u64 s[6:7], s[16:17], s[2:3]
.LBB24_2:
	s_bfe_u32 s2, ttmp6, 0x4000c
	v_dual_mov_b32 v1, 0 :: v_dual_lshlrev_b32 v30, 3, v0
	s_add_co_i32 s2, s2, 1
	s_and_b32 s3, ttmp6, 15
	s_mul_i32 s4, ttmp9, s2
	s_delay_alu instid0(VALU_DEP_1)
	v_cmp_gt_i64_e64 s2, s[8:9], v[0:1]
	s_add_co_i32 s4, s3, s4
	s_getreg_b32 s3, hwreg(HW_REG_IB_STS2, 6, 4)
	s_mov_b32 s5, 0
	s_cmp_eq_u32 s3, 0
	s_cselect_b32 s4, ttmp9, s4
	s_and_saveexec_b32 s24, s2
	s_cbranch_execz .LBB24_5
; %bb.3:
	v_mul_u64_e32 v[2:3], s[16:17], v[0:1]
	s_lshl_b64 s[14:15], s[14:15], 3
	s_mul_u64 s[18:19], s[18:19], s[4:5]
	s_lshl_b64 s[6:7], s[6:7], 3
	s_add_nc_u64 s[12:13], s[12:13], s[14:15]
	s_lshl_b64 s[14:15], s[18:19], 3
	s_add_nc_u64 s[6:7], s[12:13], s[6:7]
	v_mov_b64_e32 v[4:5], v[0:1]
	s_add_nc_u64 s[6:7], s[6:7], s[14:15]
	v_lshlrev_b32_e32 v6, 3, v0
	s_mov_b32 s12, s5
	s_delay_alu instid0(VALU_DEP_3)
	v_lshl_add_u64 v[2:3], v[2:3], 3, s[6:7]
	s_lshl_b64 s[6:7], s[16:17], 13
.LBB24_4:                               ; =>This Inner Loop Header: Depth=1
	global_load_b64 v[8:9], v[2:3], off
	v_add_nc_u64_e32 v[4:5], 0x400, v[4:5]
	s_wait_xcnt 0x0
	v_add_nc_u64_e32 v[2:3], s[6:7], v[2:3]
	s_delay_alu instid0(VALU_DEP_2)
	v_cmp_le_i64_e32 vcc_lo, s[8:9], v[4:5]
	s_or_b32 s12, vcc_lo, s12
	s_wait_loadcnt 0x0
	ds_store_b64 v6, v[8:9]
	v_add_nc_u32_e32 v6, 0x2000, v6
	s_and_not1_b32 exec_lo, exec_lo, s12
	s_cbranch_execnz .LBB24_4
.LBB24_5:
	s_or_b32 exec_lo, exec_lo, s24
	s_bfe_u32 s6, ttmp6, 0x40010
	s_bfe_u32 s7, ttmp6, 0x40004
	s_add_co_i32 s6, s6, 1
	s_wait_dscnt 0x0
	s_mul_i32 s6, ttmp7, s6
	s_barrier_signal -1
	s_add_co_i32 s6, s7, s6
	s_cmp_eq_u32 s3, 0
	s_mov_b32 s7, 0
	s_cselect_b32 s6, ttmp7, s6
	s_barrier_wait -1
	v_cmp_le_i64_e64 s3, s[10:11], s[6:7]
	s_and_b32 vcc_lo, exec_lo, s3
	s_cbranch_vccnz .LBB24_34
; %bb.6:
	v_dual_mov_b32 v3, -1 :: v_dual_bitop2_b32 v6, 31, v0 bitop3:0x40
	v_not_b32_e32 v2, v0
	s_load_b256 s[12:19], s[0:1], 0x40
	s_mul_u64 s[22:23], s[22:23], s[4:5]
	v_dual_lshrrev_b32 v22, 2, v0 :: v_dual_lshlrev_b32 v8, 3, v0
	s_delay_alu instid0(VALU_DEP_2)
	v_add_nc_u64_e32 v[2:3], s[8:9], v[2:3]
	s_lshl_b64 s[22:23], s[22:23], 3
	s_cmp_gt_i32 s8, 1
	v_cmp_eq_u32_e64 s3, 0, v6
	s_add_nc_u64 s[20:21], s[20:21], s[22:23]
	s_cselect_b32 s22, -1, 0
	v_mbcnt_lo_u32_b32 v31, -1, 0
	v_lshrrev_b64 v[4:5], 10, v[2:3]
	v_lshlrev_b64_e32 v[10:11], 3, v[2:3]
	v_cmp_gt_u64_e64 s23, 0xc00, v[2:3]
	s_wait_xcnt 0x0
	v_cmp_gt_i32_e64 s0, s8, v0
	v_cmp_eq_u32_e64 s1, 0, v0
	v_lshl_or_b32 v32, v31, 2, 64
	v_or_b32_e32 v33, 0x4000, v22
	v_add_nc_u64_e32 v[4:5], 1, v[4:5]
	v_and_b32_e32 v10, 0xffffe000, v10
	s_wait_kmcnt 0x0
	s_mul_u64 s[4:5], s[18:19], s[4:5]
	s_mul_u64 s[18:19], s[16:17], s[6:7]
	v_mov_b32_e32 v35, 0x4018
	s_add_nc_u64 s[24:25], s[4:5], s[18:19]
	s_lshl_b64 s[4:5], s[4:5], 3
	v_dual_mov_b32 v13, v5 :: v_dual_bitop2_b32 v12, -2, v4 bitop3:0x40
	s_add_nc_u64 s[24:25], s[24:25], s[14:15]
	s_lshl_b64 s[18:19], s[18:19], 3
	v_add_nc_u64_e32 v[6:7], s[24:25], v[0:1]
	s_lshl_b64 s[14:15], s[14:15], 3
	v_lshlrev_b64_e32 v[14:15], 10, v[12:13]
	s_add_nc_u64 s[18:19], s[4:5], s[18:19]
	v_mov_b32_e32 v9, 0
	s_add_nc_u64 s[14:15], s[18:19], s[14:15]
	v_cmp_lt_u64_e64 s4, 0xbff, v[2:3]
	v_lshl_add_u64 v[16:17], v[6:7], 3, s[12:13]
	s_add_nc_u64 s[12:13], s[12:13], s[14:15]
	v_or_b32_e32 v14, v14, v0
	v_add_nc_u64_e32 v[18:19], s[12:13], v[8:9]
	s_mov_b64 s[14:15], 0x1fffffffffffffff
	v_cmp_ne_u64_e64 s5, v[4:5], v[12:13]
	v_cmp_lt_u64_e32 vcc_lo, s[14:15], v[2:3]
	v_or_b32_e32 v2, 0x400, v0
	v_dual_mov_b32 v3, v1 :: v_dual_mov_b32 v34, 0x4008
	v_add_nc_u64_e32 v[20:21], 0x2004, v[18:19]
	v_mov_b32_e32 v36, 0x4028
	v_mov_b32_e32 v37, 0x4038
	;; [unrolled: 1-line block ×13, first 2 shown]
	s_lshl_b64 s[14:15], s[16:17], 9
	s_mov_b64 s[16:17], 0
	s_xor_b32 s18, vcc_lo, -1
	s_branch .LBB24_8
.LBB24_7:                               ;   in Loop: Header=BB24_8 Depth=1
	s_or_b32 exec_lo, exec_lo, s19
	s_add_nc_u64 s[6:7], s[6:7], 64
	v_add_nc_u64_e32 v[18:19], s[14:15], v[18:19]
	v_cmp_ge_i64_e64 s19, s[6:7], s[10:11]
	v_add_nc_u64_e32 v[20:21], s[14:15], v[20:21]
	s_add_nc_u64 s[16:17], s[16:17], 1
	s_add_nc_u64 s[12:13], s[12:13], s[14:15]
	s_and_b32 vcc_lo, exec_lo, s19
	s_cbranch_vccnz .LBB24_34
.LBB24_8:                               ; =>This Loop Header: Depth=1
                                        ;     Child Loop BB24_10 Depth 2
                                        ;     Child Loop BB24_26 Depth 2
	;; [unrolled: 1-line block ×3, first 2 shown]
	v_mov_b64_e32 v[4:5], 0
	s_and_saveexec_b32 s19, s0
	s_cbranch_execz .LBB24_12
; %bb.9:                                ;   in Loop: Header=BB24_8 Depth=1
	v_dual_mov_b32 v4, 0 :: v_dual_mov_b32 v22, v30
	v_mov_b64_e32 v[6:7], v[18:19]
	v_mov_b32_e32 v23, v0
	s_mov_b32 s24, 0
	s_delay_alu instid0(VALU_DEP_3)
	v_mov_b32_e32 v5, v4
.LBB24_10:                              ;   Parent Loop BB24_8 Depth=1
                                        ; =>  This Inner Loop Header: Depth=2
	global_load_b64 v[24:25], v[6:7], off
	ds_load_b64 v[26:27], v22
	s_wait_xcnt 0x0
	v_add_nc_u64_e32 v[6:7], 0x2000, v[6:7]
	v_add_nc_u32_e32 v23, 0x400, v23
	v_add_nc_u32_e32 v22, 0x2000, v22
	s_delay_alu instid0(VALU_DEP_2)
	v_cmp_le_i32_e32 vcc_lo, s8, v23
	s_or_b32 s24, vcc_lo, s24
	s_wait_dscnt 0x0
	v_mov_b32_e32 v50, v27
	s_wait_loadcnt 0x0
	v_pk_mul_f32 v[28:29], v[24:25], v[26:27] op_sel_hi:[1,0]
	s_delay_alu instid0(VALU_DEP_1) | instskip(NEXT) | instid1(VALU_DEP_3)
	v_pk_fma_f32 v[26:27], v[24:25], v[26:27], v[28:29] op_sel:[1,1,0] op_sel_hi:[0,1,1] neg_lo:[0,0,1] neg_hi:[0,0,1]
	v_pk_fma_f32 v[24:25], v[24:25], v[50:51], v[28:29] op_sel:[1,0,0] op_sel_hi:[0,1,1]
	s_delay_alu instid0(VALU_DEP_2) | instskip(NEXT) | instid1(VALU_DEP_1)
	v_mov_b32_e32 v25, v27
	v_pk_add_f32 v[4:5], v[4:5], v[24:25]
	s_and_not1_b32 exec_lo, exec_lo, s24
	s_cbranch_execnz .LBB24_10
; %bb.11:                               ;   in Loop: Header=BB24_8 Depth=1
	s_or_b32 exec_lo, exec_lo, s24
.LBB24_12:                              ;   in Loop: Header=BB24_8 Depth=1
	s_delay_alu instid0(SALU_CYCLE_1) | instskip(NEXT) | instid1(SALU_CYCLE_1)
	s_or_b32 exec_lo, exec_lo, s19
	s_and_b32 vcc_lo, exec_lo, s22
	s_cbranch_vccz .LBB24_19
; %bb.13:                               ;   in Loop: Header=BB24_8 Depth=1
	v_cmp_ne_u32_e32 vcc_lo, 31, v31
	v_add_co_ci_u32_e64 v6, null, 0, v31, vcc_lo
	v_cmp_gt_u32_e32 vcc_lo, 30, v31
	s_delay_alu instid0(VALU_DEP_2)
	v_lshlrev_b32_e32 v7, 2, v6
	v_cndmask_b32_e64 v22, 0, 2, vcc_lo
	v_cmp_gt_u32_e32 vcc_lo, 28, v31
	ds_bpermute_b32 v6, v7, v4
	ds_bpermute_b32 v7, v7, v5
	v_add_lshl_u32 v23, v22, v31, 2
	v_cndmask_b32_e64 v24, 0, 4, vcc_lo
	v_cmp_gt_u32_e32 vcc_lo, 24, v31
	s_delay_alu instid0(VALU_DEP_2)
	v_add_lshl_u32 v24, v24, v31, 2
	s_wait_dscnt 0x0
	v_pk_add_f32 v[6:7], v[4:5], v[6:7]
	ds_bpermute_b32 v22, v23, v6
	ds_bpermute_b32 v23, v23, v7
	s_wait_dscnt 0x0
	v_pk_add_f32 v[6:7], v[6:7], v[22:23]
	ds_bpermute_b32 v22, v24, v6
	ds_bpermute_b32 v23, v24, v7
	v_cndmask_b32_e64 v24, 0, 8, vcc_lo
	s_delay_alu instid0(VALU_DEP_1)
	v_add_lshl_u32 v24, v24, v31, 2
	s_wait_dscnt 0x0
	v_pk_add_f32 v[6:7], v[6:7], v[22:23]
	ds_bpermute_b32 v22, v24, v6
	ds_bpermute_b32 v23, v24, v7
	s_wait_dscnt 0x0
	v_pk_add_f32 v[6:7], v[6:7], v[22:23]
	ds_bpermute_b32 v22, v32, v6
	ds_bpermute_b32 v23, v32, v7
	s_wait_dscnt 0x0
	v_pk_add_f32 v[6:7], v[6:7], v[22:23]
	s_and_saveexec_b32 s19, s3
; %bb.14:                               ;   in Loop: Header=BB24_8 Depth=1
	ds_store_2addr_b32 v33, v6, v7 offset1:1
; %bb.15:                               ;   in Loop: Header=BB24_8 Depth=1
	s_or_b32 exec_lo, exec_lo, s19
	s_mov_b32 s24, 0
	s_mov_b32 s19, 0
	s_wait_dscnt 0x0
	s_barrier_signal -1
	s_barrier_wait -1
                                        ; implicit-def: $vgpr22_vgpr23
	s_and_saveexec_b32 s25, s1
	s_delay_alu instid0(SALU_CYCLE_1)
	s_xor_b32 s25, exec_lo, s25
	s_cbranch_execz .LBB24_17
; %bb.16:                               ;   in Loop: Header=BB24_8 Depth=1
	ds_load_2addr_b64 v[22:25], v34 offset1:1
	ds_load_2addr_b64 v[26:29], v35 offset1:1
	;; [unrolled: 1-line block ×3, first 2 shown]
	s_mov_b32 s19, exec_lo
	s_wait_dscnt 0x2
	v_pk_add_f32 v[6:7], v[6:7], v[22:23]
	s_delay_alu instid0(VALU_DEP_1) | instskip(SKIP_3) | instid1(VALU_DEP_1)
	v_pk_add_f32 v[6:7], v[6:7], v[24:25]
	ds_load_2addr_b64 v[22:25], v37 offset1:1
	s_wait_dscnt 0x2
	v_pk_add_f32 v[6:7], v[6:7], v[26:27]
	v_pk_add_f32 v[6:7], v[6:7], v[28:29]
	ds_load_2addr_b64 v[26:29], v38 offset1:1
	s_wait_dscnt 0x2
	v_pk_add_f32 v[6:7], v[6:7], v[50:51]
	s_delay_alu instid0(VALU_DEP_1) | instskip(SKIP_3) | instid1(VALU_DEP_1)
	v_pk_add_f32 v[6:7], v[6:7], v[52:53]
	ds_load_2addr_b64 v[50:53], v39 offset1:1
	s_wait_dscnt 0x2
	v_pk_add_f32 v[6:7], v[6:7], v[22:23]
	v_pk_add_f32 v[6:7], v[6:7], v[24:25]
	ds_load_2addr_b64 v[22:25], v40 offset1:1
	;; [unrolled: 9-line block ×6, first 2 shown]
	s_wait_dscnt 0x2
	v_pk_add_f32 v[6:7], v[6:7], v[22:23]
	ds_load_b64 v[22:23], v9 offset:16632
	v_pk_add_f32 v[6:7], v[6:7], v[24:25]
	s_wait_dscnt 0x2
	s_delay_alu instid0(VALU_DEP_1) | instskip(NEXT) | instid1(VALU_DEP_1)
	v_pk_add_f32 v[6:7], v[6:7], v[26:27]
	v_pk_add_f32 v[6:7], v[6:7], v[28:29]
	s_wait_dscnt 0x1
	s_delay_alu instid0(VALU_DEP_1) | instskip(NEXT) | instid1(VALU_DEP_1)
	v_pk_add_f32 v[6:7], v[6:7], v[50:51]
	v_pk_add_f32 v[6:7], v[6:7], v[52:53]
	s_wait_dscnt 0x0
	s_delay_alu instid0(VALU_DEP_1)
	v_pk_add_f32 v[22:23], v[6:7], v[22:23]
.LBB24_17:                              ;   in Loop: Header=BB24_8 Depth=1
	s_or_b32 exec_lo, exec_lo, s25
	s_delay_alu instid0(SALU_CYCLE_1)
	s_and_b32 vcc_lo, exec_lo, s24
	s_cbranch_vccnz .LBB24_20
.LBB24_18:                              ;   in Loop: Header=BB24_8 Depth=1
	s_delay_alu instid0(VALU_DEP_1)
	v_mov_b64_e32 v[4:5], v[22:23]
	s_and_saveexec_b32 s24, s19
	s_cbranch_execnz .LBB24_21
	s_branch .LBB24_22
.LBB24_19:                              ;   in Loop: Header=BB24_8 Depth=1
	s_mov_b32 s19, 0
                                        ; implicit-def: $vgpr22_vgpr23
	s_cbranch_execz .LBB24_18
.LBB24_20:                              ;   in Loop: Header=BB24_8 Depth=1
	s_and_not1_b32 s19, s19, exec_lo
	s_and_b32 s24, s1, exec_lo
	s_delay_alu instid0(SALU_CYCLE_1) | instskip(NEXT) | instid1(SALU_CYCLE_1)
	s_or_b32 s19, s19, s24
	s_and_saveexec_b32 s24, s19
.LBB24_21:                              ;   in Loop: Header=BB24_8 Depth=1
	ds_store_b64 v9, v[4:5] offset:16384
.LBB24_22:                              ;   in Loop: Header=BB24_8 Depth=1
	s_or_b32 exec_lo, exec_lo, s24
	s_wait_dscnt 0x0
	s_barrier_signal -1
	s_barrier_wait -1
	s_and_saveexec_b32 s19, s2
	s_cbranch_execz .LBB24_7
; %bb.23:                               ;   in Loop: Header=BB24_8 Depth=1
	global_load_b64 v[6:7], v9, s[20:21]
	ds_load_b64 v[26:27], v9 offset:16384
	s_mov_b32 s25, s23
	s_wait_loadcnt_dscnt 0x0
	v_dual_mul_f32 v4, v7, v27 :: v_dual_mul_f32 v5, v7, v26
	v_xor_b32_e32 v7, 0x80000000, v6
	s_delay_alu instid0(VALU_DEP_2) | instskip(NEXT) | instid1(VALU_DEP_3)
	v_xor_b32_e32 v22, 0x80000000, v4
	v_xor_b32_e32 v24, 0x80000000, v5
	v_mov_b64_e32 v[4:5], v[0:1]
	s_delay_alu instid0(VALU_DEP_3) | instskip(NEXT) | instid1(VALU_DEP_3)
	v_fmac_f32_e32 v22, v26, v7
	v_fmac_f32_e32 v24, v6, v27
	v_mov_b64_e32 v[6:7], v[8:9]
	s_wait_xcnt 0x0
	s_and_saveexec_b32 s24, s4
	s_cbranch_execz .LBB24_31
; %bb.24:                               ;   in Loop: Header=BB24_8 Depth=1
	v_mad_nc_u64_u32 v[4:5], s14, s16, v[16:17]
	s_mul_i32 s25, s15, s16
	s_mul_i32 s26, s14, s17
	s_delay_alu instid0(VALU_DEP_1) | instid1(SALU_CYCLE_1)
	v_add3_u32 v5, s26, s25, v5
	s_mov_b32 s26, -1
	s_delay_alu instid0(VALU_DEP_1) | instskip(NEXT) | instid1(VALU_DEP_1)
	v_add_nc_u64_e32 v[6:7], v[4:5], v[10:11]
	v_cmp_ge_u64_e32 vcc_lo, v[6:7], v[4:5]
	v_mov_b64_e32 v[4:5], v[0:1]
	v_mov_b64_e32 v[6:7], v[8:9]
	s_and_b32 s27, vcc_lo, s18
	s_delay_alu instid0(SALU_CYCLE_1)
	s_and_saveexec_b32 s25, s27
	s_cbranch_execz .LBB24_30
; %bb.25:                               ;   in Loop: Header=BB24_8 Depth=1
	v_mov_b64_e32 v[6:7], v[2:3]
	v_mov_b64_e32 v[26:27], v[12:13]
	;; [unrolled: 1-line block ×4, first 2 shown]
	v_dual_mov_b32 v23, v22 :: v_dual_mov_b32 v25, v24
	s_mov_b32 s26, 0
.LBB24_26:                              ;   Parent Loop BB24_8 Depth=1
                                        ; =>  This Inner Loop Header: Depth=2
	s_clause 0x1
	global_load_b64 v[50:51], v[28:29], off offset:-8196
	global_load_b64 v[52:53], v[28:29], off offset:-4
	v_dual_lshlrev_b32 v49, 3, v6 :: v_dual_lshlrev_b32 v56, 3, v4
	v_add_nc_u64_e32 v[26:27], -2, v[26:27]
	v_add_nc_u64_e32 v[6:7], 0x800, v[6:7]
	ds_load_b64 v[54:55], v49
	ds_load_b64 v[56:57], v56
	v_add_nc_u64_e32 v[4:5], 0x800, v[4:5]
	v_cmp_eq_u64_e32 vcc_lo, 0, v[26:27]
	s_or_b32 s26, vcc_lo, s26
	s_wait_dscnt 0x0
	v_dual_mov_b32 v59, v54 :: v_dual_mov_b32 v54, v57
	v_mov_b32_e32 v58, v56
	s_delay_alu instid0(VALU_DEP_2) | instskip(SKIP_1) | instid1(VALU_DEP_2)
	v_pk_mul_f32 v[56:57], v[24:25], v[54:55]
	v_pk_mul_f32 v[54:55], v[22:23], v[54:55]
	v_pk_fma_f32 v[56:57], v[22:23], v[58:59], v[56:57] neg_lo:[0,0,1] neg_hi:[0,0,1]
	s_delay_alu instid0(VALU_DEP_2) | instskip(SKIP_3) | instid1(VALU_DEP_2)
	v_pk_fma_f32 v[54:55], v[24:25], v[58:59], v[54:55]
	s_wait_loadcnt 0x0
	v_dual_mov_b32 v58, v50 :: v_dual_mov_b32 v59, v52
	v_mov_b32_e32 v52, v51
	v_pk_add_f32 v[50:51], v[58:59], v[56:57]
	s_delay_alu instid0(VALU_DEP_2) | instskip(NEXT) | instid1(VALU_DEP_1)
	v_pk_add_f32 v[52:53], v[54:55], v[52:53]
	v_dual_mov_b32 v54, v50 :: v_dual_mov_b32 v55, v52
	s_delay_alu instid0(VALU_DEP_3)
	v_mov_b32_e32 v52, v51
	s_clause 0x1
	global_store_b64 v[28:29], v[54:55], off offset:-8196
	global_store_b64 v[28:29], v[52:53], off offset:-4
	s_wait_xcnt 0x0
	v_add_nc_u64_e32 v[28:29], 0x4000, v[28:29]
	s_and_not1_b32 exec_lo, exec_lo, s26
	s_cbranch_execnz .LBB24_26
; %bb.27:                               ;   in Loop: Header=BB24_8 Depth=1
	s_or_b32 exec_lo, exec_lo, s26
	s_mov_b32 s26, 0
                                        ; implicit-def: $vgpr6_vgpr7
	s_and_saveexec_b32 s27, s5
; %bb.28:                               ;   in Loop: Header=BB24_8 Depth=1
	v_lshlrev_b64_e32 v[6:7], 3, v[14:15]
	s_mov_b32 s26, exec_lo
; %bb.29:                               ;   in Loop: Header=BB24_8 Depth=1
	s_or_b32 exec_lo, exec_lo, s27
	v_mov_b64_e32 v[4:5], v[14:15]
	s_or_not1_b32 s26, s26, exec_lo
.LBB24_30:                              ;   in Loop: Header=BB24_8 Depth=1
	s_or_b32 exec_lo, exec_lo, s25
	s_delay_alu instid0(SALU_CYCLE_1) | instskip(SKIP_1) | instid1(SALU_CYCLE_1)
	s_and_not1_b32 s25, s23, exec_lo
	s_and_b32 s26, s26, exec_lo
	s_or_b32 s25, s25, s26
.LBB24_31:                              ;   in Loop: Header=BB24_8 Depth=1
	s_or_b32 exec_lo, exec_lo, s24
	s_delay_alu instid0(SALU_CYCLE_1)
	s_and_b32 exec_lo, exec_lo, s25
	s_cbranch_execz .LBB24_7
; %bb.32:                               ;   in Loop: Header=BB24_8 Depth=1
	v_add_nc_u64_e32 v[6:7], s[12:13], v[6:7]
	v_dual_mov_b32 v25, v24 :: v_dual_mov_b32 v23, v22
	v_lshlrev_b32_e32 v26, 3, v4
	s_mov_b32 s24, 0
.LBB24_33:                              ;   Parent Loop BB24_8 Depth=1
                                        ; =>  This Inner Loop Header: Depth=2
	global_load_b64 v[28:29], v[6:7], off
	ds_load_b64 v[50:51], v26
	v_add_nc_u64_e32 v[4:5], 0x400, v[4:5]
	v_add_nc_u32_e32 v26, 0x2000, v26
	s_delay_alu instid0(VALU_DEP_2) | instskip(SKIP_3) | instid1(VALU_DEP_1)
	v_cmp_le_i64_e32 vcc_lo, s[8:9], v[4:5]
	s_or_b32 s24, vcc_lo, s24
	s_wait_dscnt 0x0
	v_pk_mul_f32 v[52:53], v[24:25], v[50:51] op_sel:[0,1] op_sel_hi:[1,0]
	v_pk_fma_f32 v[54:55], v[22:23], v[50:51], v[52:53]
	v_pk_fma_f32 v[50:51], v[22:23], v[50:51], v[52:53] neg_lo:[0,0,1] neg_hi:[0,0,1]
	s_delay_alu instid0(VALU_DEP_2) | instskip(SKIP_1) | instid1(VALU_DEP_1)
	v_mov_b32_e32 v51, v55
	s_wait_loadcnt 0x0
	v_pk_add_f32 v[28:29], v[28:29], v[50:51]
	global_store_b64 v[6:7], v[28:29], off
	s_wait_xcnt 0x0
	v_add_nc_u64_e32 v[6:7], 0x2000, v[6:7]
	s_and_not1_b32 exec_lo, exec_lo, s24
	s_cbranch_execnz .LBB24_33
	s_branch .LBB24_7
.LBB24_34:
	s_endpgm
	.section	.rodata,"a",@progbits
	.p2align	6, 0x0
	.amdhsa_kernel _ZN9rocsolver6v33100L22larf_left_kernel_smallILi1024E19rocblas_complex_numIfElPS3_EEvT1_S5_T2_lS5_lPKT0_lS6_lS5_l
		.amdhsa_group_segment_fixed_size 24576
		.amdhsa_private_segment_fixed_size 0
		.amdhsa_kernarg_size 96
		.amdhsa_user_sgpr_count 2
		.amdhsa_user_sgpr_dispatch_ptr 0
		.amdhsa_user_sgpr_queue_ptr 0
		.amdhsa_user_sgpr_kernarg_segment_ptr 1
		.amdhsa_user_sgpr_dispatch_id 0
		.amdhsa_user_sgpr_kernarg_preload_length 0
		.amdhsa_user_sgpr_kernarg_preload_offset 0
		.amdhsa_user_sgpr_private_segment_size 0
		.amdhsa_wavefront_size32 1
		.amdhsa_uses_dynamic_stack 0
		.amdhsa_enable_private_segment 0
		.amdhsa_system_sgpr_workgroup_id_x 1
		.amdhsa_system_sgpr_workgroup_id_y 1
		.amdhsa_system_sgpr_workgroup_id_z 0
		.amdhsa_system_sgpr_workgroup_info 0
		.amdhsa_system_vgpr_workitem_id 0
		.amdhsa_next_free_vgpr 60
		.amdhsa_next_free_sgpr 28
		.amdhsa_named_barrier_count 0
		.amdhsa_reserve_vcc 1
		.amdhsa_float_round_mode_32 0
		.amdhsa_float_round_mode_16_64 0
		.amdhsa_float_denorm_mode_32 3
		.amdhsa_float_denorm_mode_16_64 3
		.amdhsa_fp16_overflow 0
		.amdhsa_memory_ordered 1
		.amdhsa_forward_progress 1
		.amdhsa_inst_pref_size 20
		.amdhsa_round_robin_scheduling 0
		.amdhsa_exception_fp_ieee_invalid_op 0
		.amdhsa_exception_fp_denorm_src 0
		.amdhsa_exception_fp_ieee_div_zero 0
		.amdhsa_exception_fp_ieee_overflow 0
		.amdhsa_exception_fp_ieee_underflow 0
		.amdhsa_exception_fp_ieee_inexact 0
		.amdhsa_exception_int_div_zero 0
	.end_amdhsa_kernel
	.section	.text._ZN9rocsolver6v33100L22larf_left_kernel_smallILi1024E19rocblas_complex_numIfElPS3_EEvT1_S5_T2_lS5_lPKT0_lS6_lS5_l,"axG",@progbits,_ZN9rocsolver6v33100L22larf_left_kernel_smallILi1024E19rocblas_complex_numIfElPS3_EEvT1_S5_T2_lS5_lPKT0_lS6_lS5_l,comdat
.Lfunc_end24:
	.size	_ZN9rocsolver6v33100L22larf_left_kernel_smallILi1024E19rocblas_complex_numIfElPS3_EEvT1_S5_T2_lS5_lPKT0_lS6_lS5_l, .Lfunc_end24-_ZN9rocsolver6v33100L22larf_left_kernel_smallILi1024E19rocblas_complex_numIfElPS3_EEvT1_S5_T2_lS5_lPKT0_lS6_lS5_l
                                        ; -- End function
	.set _ZN9rocsolver6v33100L22larf_left_kernel_smallILi1024E19rocblas_complex_numIfElPS3_EEvT1_S5_T2_lS5_lPKT0_lS6_lS5_l.num_vgpr, 60
	.set _ZN9rocsolver6v33100L22larf_left_kernel_smallILi1024E19rocblas_complex_numIfElPS3_EEvT1_S5_T2_lS5_lPKT0_lS6_lS5_l.num_agpr, 0
	.set _ZN9rocsolver6v33100L22larf_left_kernel_smallILi1024E19rocblas_complex_numIfElPS3_EEvT1_S5_T2_lS5_lPKT0_lS6_lS5_l.numbered_sgpr, 28
	.set _ZN9rocsolver6v33100L22larf_left_kernel_smallILi1024E19rocblas_complex_numIfElPS3_EEvT1_S5_T2_lS5_lPKT0_lS6_lS5_l.num_named_barrier, 0
	.set _ZN9rocsolver6v33100L22larf_left_kernel_smallILi1024E19rocblas_complex_numIfElPS3_EEvT1_S5_T2_lS5_lPKT0_lS6_lS5_l.private_seg_size, 0
	.set _ZN9rocsolver6v33100L22larf_left_kernel_smallILi1024E19rocblas_complex_numIfElPS3_EEvT1_S5_T2_lS5_lPKT0_lS6_lS5_l.uses_vcc, 1
	.set _ZN9rocsolver6v33100L22larf_left_kernel_smallILi1024E19rocblas_complex_numIfElPS3_EEvT1_S5_T2_lS5_lPKT0_lS6_lS5_l.uses_flat_scratch, 0
	.set _ZN9rocsolver6v33100L22larf_left_kernel_smallILi1024E19rocblas_complex_numIfElPS3_EEvT1_S5_T2_lS5_lPKT0_lS6_lS5_l.has_dyn_sized_stack, 0
	.set _ZN9rocsolver6v33100L22larf_left_kernel_smallILi1024E19rocblas_complex_numIfElPS3_EEvT1_S5_T2_lS5_lPKT0_lS6_lS5_l.has_recursion, 0
	.set _ZN9rocsolver6v33100L22larf_left_kernel_smallILi1024E19rocblas_complex_numIfElPS3_EEvT1_S5_T2_lS5_lPKT0_lS6_lS5_l.has_indirect_call, 0
	.section	.AMDGPU.csdata,"",@progbits
; Kernel info:
; codeLenInByte = 2488
; TotalNumSgprs: 30
; NumVgprs: 60
; ScratchSize: 0
; MemoryBound: 0
; FloatMode: 240
; IeeeMode: 1
; LDSByteSize: 24576 bytes/workgroup (compile time only)
; SGPRBlocks: 0
; VGPRBlocks: 3
; NumSGPRsForWavesPerEU: 30
; NumVGPRsForWavesPerEU: 60
; NamedBarCnt: 0
; Occupancy: 16
; WaveLimiterHint : 1
; COMPUTE_PGM_RSRC2:SCRATCH_EN: 0
; COMPUTE_PGM_RSRC2:USER_SGPR: 2
; COMPUTE_PGM_RSRC2:TRAP_HANDLER: 0
; COMPUTE_PGM_RSRC2:TGID_X_EN: 1
; COMPUTE_PGM_RSRC2:TGID_Y_EN: 1
; COMPUTE_PGM_RSRC2:TGID_Z_EN: 0
; COMPUTE_PGM_RSRC2:TIDIG_COMP_CNT: 0
	.section	.text._ZN9rocsolver6v33100L23larf_right_kernel_smallILi64E19rocblas_complex_numIfElPS3_EEvT1_S5_T2_lS5_lPKT0_lS6_lS5_l,"axG",@progbits,_ZN9rocsolver6v33100L23larf_right_kernel_smallILi64E19rocblas_complex_numIfElPS3_EEvT1_S5_T2_lS5_lPKT0_lS6_lS5_l,comdat
	.globl	_ZN9rocsolver6v33100L23larf_right_kernel_smallILi64E19rocblas_complex_numIfElPS3_EEvT1_S5_T2_lS5_lPKT0_lS6_lS5_l ; -- Begin function _ZN9rocsolver6v33100L23larf_right_kernel_smallILi64E19rocblas_complex_numIfElPS3_EEvT1_S5_T2_lS5_lPKT0_lS6_lS5_l
	.p2align	8
	.type	_ZN9rocsolver6v33100L23larf_right_kernel_smallILi64E19rocblas_complex_numIfElPS3_EEvT1_S5_T2_lS5_lPKT0_lS6_lS5_l,@function
_ZN9rocsolver6v33100L23larf_right_kernel_smallILi64E19rocblas_complex_numIfElPS3_EEvT1_S5_T2_lS5_lPKT0_lS6_lS5_l: ; @_ZN9rocsolver6v33100L23larf_right_kernel_smallILi64E19rocblas_complex_numIfElPS3_EEvT1_S5_T2_lS5_lPKT0_lS6_lS5_l
; %bb.0:
	s_load_b512 s[4:19], s[0:1], 0x0
	s_mov_b64 s[20:21], 0
	s_wait_kmcnt 0x0
	v_cmp_gt_i64_e64 s2, s[12:13], 0
	s_and_b32 vcc_lo, exec_lo, s2
	s_cbranch_vccnz .LBB25_2
; %bb.1:
	s_sub_nc_u64 s[2:3], 1, s[6:7]
	s_delay_alu instid0(SALU_CYCLE_1)
	s_mul_u64 s[20:21], s[12:13], s[2:3]
.LBB25_2:
	s_bfe_u32 s2, ttmp6, 0x4000c
	v_dual_mov_b32 v1, 0 :: v_dual_lshlrev_b32 v12, 3, v0
	s_add_co_i32 s2, s2, 1
	s_and_b32 s3, ttmp6, 15
	s_mul_i32 s22, ttmp9, s2
	s_delay_alu instid0(VALU_DEP_1)
	v_cmp_gt_i64_e64 s2, s[6:7], v[0:1]
	s_add_co_i32 s22, s3, s22
	s_getreg_b32 s3, hwreg(HW_REG_IB_STS2, 6, 4)
	s_mov_b32 s23, 0
	s_cmp_eq_u32 s3, 0
	s_cselect_b32 s22, ttmp9, s22
	s_and_saveexec_b32 s24, s2
	s_cbranch_execz .LBB25_5
; %bb.3:
	v_mul_u64_e32 v[2:3], s[12:13], v[0:1]
	s_lshl_b64 s[10:11], s[10:11], 3
	s_mul_u64 s[14:15], s[14:15], s[22:23]
	s_lshl_b64 s[20:21], s[20:21], 3
	s_add_nc_u64 s[8:9], s[8:9], s[10:11]
	s_lshl_b64 s[10:11], s[14:15], 3
	s_add_nc_u64 s[8:9], s[8:9], s[20:21]
	v_mov_b64_e32 v[4:5], v[0:1]
	s_add_nc_u64 s[8:9], s[8:9], s[10:11]
	v_lshlrev_b32_e32 v6, 3, v0
	s_mov_b32 s10, s23
	s_delay_alu instid0(VALU_DEP_3)
	v_lshl_add_u64 v[2:3], v[2:3], 3, s[8:9]
	s_lshl_b64 s[8:9], s[12:13], 9
.LBB25_4:                               ; =>This Inner Loop Header: Depth=1
	global_load_b64 v[8:9], v[2:3], off
	v_add_nc_u64_e32 v[4:5], 64, v[4:5]
	s_wait_xcnt 0x0
	v_add_nc_u64_e32 v[2:3], s[8:9], v[2:3]
	s_delay_alu instid0(VALU_DEP_2)
	v_cmp_le_i64_e32 vcc_lo, s[6:7], v[4:5]
	s_or_b32 s10, vcc_lo, s10
	s_wait_loadcnt 0x0
	ds_store_b64 v6, v[8:9]
	v_add_nc_u32_e32 v6, 0x200, v6
	s_and_not1_b32 exec_lo, exec_lo, s10
	s_cbranch_execnz .LBB25_4
.LBB25_5:
	s_or_b32 exec_lo, exec_lo, s24
	s_bfe_u32 s8, ttmp6, 0x40010
	s_bfe_u32 s9, ttmp6, 0x40004
	s_add_co_i32 s8, s8, 1
	s_mov_b32 s21, 0
	s_mul_i32 s8, ttmp7, s8
	s_wait_dscnt 0x0
	s_add_co_i32 s9, s9, s8
	s_cmp_eq_u32 s3, 0
	s_barrier_signal -1
	s_cselect_b32 s20, ttmp7, s9
	s_barrier_wait -1
	v_cmp_le_i64_e64 s3, s[4:5], s[20:21]
	s_and_b32 vcc_lo, exec_lo, s3
	s_cbranch_vccnz .LBB25_25
; %bb.6:
	s_load_b256 s[8:15], s[0:1], 0x40
	s_mul_u64 s[18:19], s[18:19], s[22:23]
	v_dual_lshrrev_b32 v5, 2, v0 :: v_dual_bitop2_b32 v4, 31, v0 bitop3:0x40
	s_lshl_b64 s[24:25], s[18:19], 3
	v_mbcnt_lo_u32_b32 v13, -1, 0
	s_wait_xcnt 0x0
	v_cmp_gt_i32_e64 s0, s6, v0
	v_cmp_eq_u32_e64 s1, 0, v0
	v_cmp_eq_u32_e64 s3, 0, v4
	v_or_b32_e32 v15, 0x4000, v5
	v_lshl_or_b32 v14, v13, 2, 64
	v_mov_b32_e32 v17, 0
	s_wait_kmcnt 0x0
	v_mul_u64_e32 v[2:3], s[12:13], v[0:1]
	s_mul_u64 s[14:15], s[14:15], s[22:23]
	s_lshl_b64 s[10:11], s[10:11], 3
	s_lshl_b64 s[14:15], s[14:15], 3
	s_cmp_gt_i32 s6, 1
	v_mul_lo_u32 v16, v0, s12
	s_cselect_b32 s18, -1, 0
	s_lshl_b64 s[22:23], s[20:21], 3
	s_delay_alu instid0(SALU_CYCLE_1)
	s_add_nc_u64 s[22:23], s[8:9], s[22:23]
	s_add_nc_u64 s[8:9], s[8:9], s[14:15]
	;; [unrolled: 1-line block ×6, first 2 shown]
	s_lshl_b32 s16, s12, 6
	s_lshl_b64 s[12:13], s[12:13], 9
	s_delay_alu instid0(VALU_DEP_2)
	v_lshl_add_u64 v[2:3], v[2:3], 3, s[14:15]
	s_branch .LBB25_8
.LBB25_7:                               ;   in Loop: Header=BB25_8 Depth=1
	s_or_b32 exec_lo, exec_lo, s14
	s_add_nc_u64 s[20:21], s[20:21], 64
	v_add_nc_u64_e32 v[2:3], 0x200, v[2:3]
	v_cmp_ge_i64_e64 s14, s[20:21], s[4:5]
	s_and_b32 vcc_lo, exec_lo, s14
	s_cbranch_vccnz .LBB25_25
.LBB25_8:                               ; =>This Loop Header: Depth=1
                                        ;     Child Loop BB25_10 Depth 2
                                        ;     Child Loop BB25_24 Depth 2
	v_mov_b64_e32 v[4:5], 0
	s_and_saveexec_b32 s17, s0
	s_cbranch_execz .LBB25_12
; %bb.9:                                ;   in Loop: Header=BB25_8 Depth=1
	v_dual_mov_b32 v4, 0 :: v_dual_mov_b32 v6, v16
	v_dual_mov_b32 v7, v12 :: v_dual_mov_b32 v8, v0
	s_lshl_b64 s[14:15], s[20:21], 3
	s_delay_alu instid0(VALU_DEP_2)
	v_mov_b32_e32 v5, v4
	s_add_nc_u64 s[14:15], s[8:9], s[14:15]
	s_mov_b32 s19, 0
.LBB25_10:                              ;   Parent Loop BB25_8 Depth=1
                                        ; =>  This Inner Loop Header: Depth=2
	global_load_b64 v[10:11], v6, s[14:15] scale_offset
	ds_load_b64 v[18:19], v7
	v_add_nc_u32_e32 v7, 0x200, v7
	s_wait_xcnt 0x0
	v_add_nc_u32_e32 v6, s16, v6
	s_wait_loadcnt_dscnt 0x0
	v_pk_mul_f32 v[20:21], v[10:11], v[18:19] op_sel:[1,1] op_sel_hi:[0,1]
	s_delay_alu instid0(VALU_DEP_1) | instskip(SKIP_2) | instid1(VALU_DEP_3)
	v_pk_fma_f32 v[22:23], v[10:11], v[18:19], v[20:21] op_sel_hi:[1,0,1]
	v_add_nc_u32_e32 v8, 64, v8
	v_pk_fma_f32 v[10:11], v[10:11], v[18:19], v[20:21] neg_lo:[0,0,1] neg_hi:[0,0,1]
	v_mov_b32_e32 v11, v23
	s_delay_alu instid0(VALU_DEP_3) | instskip(NEXT) | instid1(VALU_DEP_2)
	v_cmp_le_i32_e32 vcc_lo, s6, v8
	v_pk_add_f32 v[4:5], v[4:5], v[10:11]
	s_or_b32 s19, vcc_lo, s19
	s_delay_alu instid0(SALU_CYCLE_1)
	s_and_not1_b32 exec_lo, exec_lo, s19
	s_cbranch_execnz .LBB25_10
; %bb.11:                               ;   in Loop: Header=BB25_8 Depth=1
	s_or_b32 exec_lo, exec_lo, s19
.LBB25_12:                              ;   in Loop: Header=BB25_8 Depth=1
	s_delay_alu instid0(SALU_CYCLE_1) | instskip(NEXT) | instid1(SALU_CYCLE_1)
	s_or_b32 exec_lo, exec_lo, s17
	s_and_b32 vcc_lo, exec_lo, s18
	s_cbranch_vccz .LBB25_19
; %bb.13:                               ;   in Loop: Header=BB25_8 Depth=1
	v_cmp_ne_u32_e32 vcc_lo, 31, v13
	v_add_co_ci_u32_e64 v6, null, 0, v13, vcc_lo
	v_cmp_gt_u32_e32 vcc_lo, 30, v13
	s_delay_alu instid0(VALU_DEP_2)
	v_lshlrev_b32_e32 v7, 2, v6
	v_cndmask_b32_e64 v8, 0, 2, vcc_lo
	v_cmp_gt_u32_e32 vcc_lo, 28, v13
	ds_bpermute_b32 v6, v7, v4
	ds_bpermute_b32 v7, v7, v5
	v_add_lshl_u32 v9, v8, v13, 2
	v_cndmask_b32_e64 v10, 0, 4, vcc_lo
	v_cmp_gt_u32_e32 vcc_lo, 24, v13
	s_delay_alu instid0(VALU_DEP_2)
	v_add_lshl_u32 v10, v10, v13, 2
	s_wait_dscnt 0x0
	v_pk_add_f32 v[6:7], v[4:5], v[6:7]
	ds_bpermute_b32 v8, v9, v6
	ds_bpermute_b32 v9, v9, v7
	s_wait_dscnt 0x0
	v_pk_add_f32 v[6:7], v[6:7], v[8:9]
	ds_bpermute_b32 v8, v10, v6
	ds_bpermute_b32 v9, v10, v7
	v_cndmask_b32_e64 v10, 0, 8, vcc_lo
	s_delay_alu instid0(VALU_DEP_1)
	v_add_lshl_u32 v10, v10, v13, 2
	s_wait_dscnt 0x0
	v_pk_add_f32 v[6:7], v[6:7], v[8:9]
	ds_bpermute_b32 v8, v10, v6
	ds_bpermute_b32 v9, v10, v7
	s_wait_dscnt 0x0
	v_pk_add_f32 v[6:7], v[6:7], v[8:9]
	ds_bpermute_b32 v8, v14, v6
	ds_bpermute_b32 v9, v14, v7
	s_wait_dscnt 0x0
	v_pk_add_f32 v[8:9], v[6:7], v[8:9]
	s_and_saveexec_b32 s14, s3
; %bb.14:                               ;   in Loop: Header=BB25_8 Depth=1
	ds_store_2addr_b32 v15, v8, v9 offset1:1
; %bb.15:                               ;   in Loop: Header=BB25_8 Depth=1
	s_or_b32 exec_lo, exec_lo, s14
	s_mov_b32 s15, 0
	s_mov_b32 s14, 0
	s_wait_dscnt 0x0
	s_barrier_signal -1
	s_barrier_wait -1
                                        ; implicit-def: $vgpr6_vgpr7
	s_and_saveexec_b32 s17, s1
	s_delay_alu instid0(SALU_CYCLE_1)
	s_xor_b32 s17, exec_lo, s17
	s_cbranch_execz .LBB25_17
; %bb.16:                               ;   in Loop: Header=BB25_8 Depth=1
	ds_load_b64 v[6:7], v17 offset:16392
	s_mov_b32 s14, exec_lo
	s_wait_dscnt 0x0
	v_pk_add_f32 v[6:7], v[8:9], v[6:7]
.LBB25_17:                              ;   in Loop: Header=BB25_8 Depth=1
	s_or_b32 exec_lo, exec_lo, s17
	s_delay_alu instid0(SALU_CYCLE_1)
	s_and_b32 vcc_lo, exec_lo, s15
	s_cbranch_vccnz .LBB25_20
.LBB25_18:                              ;   in Loop: Header=BB25_8 Depth=1
	s_delay_alu instid0(VALU_DEP_1)
	v_mov_b64_e32 v[4:5], v[6:7]
	s_and_saveexec_b32 s15, s14
	s_cbranch_execnz .LBB25_21
	s_branch .LBB25_22
.LBB25_19:                              ;   in Loop: Header=BB25_8 Depth=1
	s_mov_b32 s14, 0
                                        ; implicit-def: $vgpr6_vgpr7
	s_cbranch_execz .LBB25_18
.LBB25_20:                              ;   in Loop: Header=BB25_8 Depth=1
	s_and_not1_b32 s14, s14, exec_lo
	s_and_b32 s15, s1, exec_lo
	s_delay_alu instid0(SALU_CYCLE_1) | instskip(NEXT) | instid1(SALU_CYCLE_1)
	s_or_b32 s14, s14, s15
	s_and_saveexec_b32 s15, s14
.LBB25_21:                              ;   in Loop: Header=BB25_8 Depth=1
	ds_store_b64 v17, v[4:5] offset:16384
.LBB25_22:                              ;   in Loop: Header=BB25_8 Depth=1
	s_or_b32 exec_lo, exec_lo, s15
	s_wait_dscnt 0x0
	s_barrier_signal -1
	s_barrier_wait -1
	s_and_saveexec_b32 s14, s2
	s_cbranch_execz .LBB25_7
; %bb.23:                               ;   in Loop: Header=BB25_8 Depth=1
	global_load_b64 v[4:5], v17, s[10:11]
	ds_load_b64 v[8:9], v17 offset:16384
	s_mov_b32 s15, 0
	s_wait_loadcnt_dscnt 0x0
	v_dual_mul_f32 v6, v4, v9 :: v_dual_mul_f32 v7, v4, v8
	v_xor_b32_e32 v10, 0x80000000, v5
	s_delay_alu instid0(VALU_DEP_2) | instskip(NEXT) | instid1(VALU_DEP_3)
	v_xor_b32_e32 v4, 0x80000000, v6
	v_xor_b32_e32 v6, 0x80000000, v7
	s_delay_alu instid0(VALU_DEP_1) | instskip(SKIP_2) | instid1(VALU_DEP_3)
	v_dual_fmac_f32 v4, v8, v10 :: v_dual_fmac_f32 v6, v5, v9
	v_mov_b64_e32 v[8:9], v[2:3]
	v_mov_b64_e32 v[10:11], v[0:1]
	v_dual_mov_b32 v18, v12 :: v_dual_mov_b32 v5, v4
	s_delay_alu instid0(VALU_DEP_4)
	v_mov_b32_e32 v7, v6
.LBB25_24:                              ;   Parent Loop BB25_8 Depth=1
                                        ; =>  This Inner Loop Header: Depth=2
	global_load_b64 v[20:21], v[8:9], off
	ds_load_b64 v[22:23], v18
	v_add_nc_u64_e32 v[10:11], 64, v[10:11]
	v_add_nc_u32_e32 v18, 0x200, v18
	s_delay_alu instid0(VALU_DEP_2) | instskip(SKIP_3) | instid1(VALU_DEP_1)
	v_cmp_le_i64_e32 vcc_lo, s[6:7], v[10:11]
	s_or_b32 s15, vcc_lo, s15
	s_wait_dscnt 0x0
	v_pk_mul_f32 v[24:25], v[6:7], v[22:23]
	v_pk_fma_f32 v[26:27], v[4:5], v[22:23], v[24:25] op_sel:[0,1,0] op_sel_hi:[1,0,1] neg_lo:[0,0,1] neg_hi:[0,0,1]
	v_pk_fma_f32 v[22:23], v[4:5], v[22:23], v[24:25] op_sel:[0,1,0] op_sel_hi:[1,0,1]
	s_delay_alu instid0(VALU_DEP_2) | instskip(SKIP_1) | instid1(VALU_DEP_1)
	v_mov_b32_e32 v23, v27
	s_wait_loadcnt 0x0
	v_pk_add_f32 v[20:21], v[20:21], v[22:23]
	global_store_b64 v[8:9], v[20:21], off
	s_wait_xcnt 0x0
	v_add_nc_u64_e32 v[8:9], s[12:13], v[8:9]
	s_and_not1_b32 exec_lo, exec_lo, s15
	s_cbranch_execnz .LBB25_24
	s_branch .LBB25_7
.LBB25_25:
	s_endpgm
	.section	.rodata,"a",@progbits
	.p2align	6, 0x0
	.amdhsa_kernel _ZN9rocsolver6v33100L23larf_right_kernel_smallILi64E19rocblas_complex_numIfElPS3_EEvT1_S5_T2_lS5_lPKT0_lS6_lS5_l
		.amdhsa_group_segment_fixed_size 16400
		.amdhsa_private_segment_fixed_size 0
		.amdhsa_kernarg_size 96
		.amdhsa_user_sgpr_count 2
		.amdhsa_user_sgpr_dispatch_ptr 0
		.amdhsa_user_sgpr_queue_ptr 0
		.amdhsa_user_sgpr_kernarg_segment_ptr 1
		.amdhsa_user_sgpr_dispatch_id 0
		.amdhsa_user_sgpr_kernarg_preload_length 0
		.amdhsa_user_sgpr_kernarg_preload_offset 0
		.amdhsa_user_sgpr_private_segment_size 0
		.amdhsa_wavefront_size32 1
		.amdhsa_uses_dynamic_stack 0
		.amdhsa_enable_private_segment 0
		.amdhsa_system_sgpr_workgroup_id_x 1
		.amdhsa_system_sgpr_workgroup_id_y 1
		.amdhsa_system_sgpr_workgroup_id_z 0
		.amdhsa_system_sgpr_workgroup_info 0
		.amdhsa_system_vgpr_workitem_id 0
		.amdhsa_next_free_vgpr 113
		.amdhsa_next_free_sgpr 26
		.amdhsa_named_barrier_count 0
		.amdhsa_reserve_vcc 1
		.amdhsa_float_round_mode_32 0
		.amdhsa_float_round_mode_16_64 0
		.amdhsa_float_denorm_mode_32 3
		.amdhsa_float_denorm_mode_16_64 3
		.amdhsa_fp16_overflow 0
		.amdhsa_memory_ordered 1
		.amdhsa_forward_progress 1
		.amdhsa_inst_pref_size 11
		.amdhsa_round_robin_scheduling 0
		.amdhsa_exception_fp_ieee_invalid_op 0
		.amdhsa_exception_fp_denorm_src 0
		.amdhsa_exception_fp_ieee_div_zero 0
		.amdhsa_exception_fp_ieee_overflow 0
		.amdhsa_exception_fp_ieee_underflow 0
		.amdhsa_exception_fp_ieee_inexact 0
		.amdhsa_exception_int_div_zero 0
	.end_amdhsa_kernel
	.section	.text._ZN9rocsolver6v33100L23larf_right_kernel_smallILi64E19rocblas_complex_numIfElPS3_EEvT1_S5_T2_lS5_lPKT0_lS6_lS5_l,"axG",@progbits,_ZN9rocsolver6v33100L23larf_right_kernel_smallILi64E19rocblas_complex_numIfElPS3_EEvT1_S5_T2_lS5_lPKT0_lS6_lS5_l,comdat
.Lfunc_end25:
	.size	_ZN9rocsolver6v33100L23larf_right_kernel_smallILi64E19rocblas_complex_numIfElPS3_EEvT1_S5_T2_lS5_lPKT0_lS6_lS5_l, .Lfunc_end25-_ZN9rocsolver6v33100L23larf_right_kernel_smallILi64E19rocblas_complex_numIfElPS3_EEvT1_S5_T2_lS5_lPKT0_lS6_lS5_l
                                        ; -- End function
	.set _ZN9rocsolver6v33100L23larf_right_kernel_smallILi64E19rocblas_complex_numIfElPS3_EEvT1_S5_T2_lS5_lPKT0_lS6_lS5_l.num_vgpr, 28
	.set _ZN9rocsolver6v33100L23larf_right_kernel_smallILi64E19rocblas_complex_numIfElPS3_EEvT1_S5_T2_lS5_lPKT0_lS6_lS5_l.num_agpr, 0
	.set _ZN9rocsolver6v33100L23larf_right_kernel_smallILi64E19rocblas_complex_numIfElPS3_EEvT1_S5_T2_lS5_lPKT0_lS6_lS5_l.numbered_sgpr, 26
	.set _ZN9rocsolver6v33100L23larf_right_kernel_smallILi64E19rocblas_complex_numIfElPS3_EEvT1_S5_T2_lS5_lPKT0_lS6_lS5_l.num_named_barrier, 0
	.set _ZN9rocsolver6v33100L23larf_right_kernel_smallILi64E19rocblas_complex_numIfElPS3_EEvT1_S5_T2_lS5_lPKT0_lS6_lS5_l.private_seg_size, 0
	.set _ZN9rocsolver6v33100L23larf_right_kernel_smallILi64E19rocblas_complex_numIfElPS3_EEvT1_S5_T2_lS5_lPKT0_lS6_lS5_l.uses_vcc, 1
	.set _ZN9rocsolver6v33100L23larf_right_kernel_smallILi64E19rocblas_complex_numIfElPS3_EEvT1_S5_T2_lS5_lPKT0_lS6_lS5_l.uses_flat_scratch, 0
	.set _ZN9rocsolver6v33100L23larf_right_kernel_smallILi64E19rocblas_complex_numIfElPS3_EEvT1_S5_T2_lS5_lPKT0_lS6_lS5_l.has_dyn_sized_stack, 0
	.set _ZN9rocsolver6v33100L23larf_right_kernel_smallILi64E19rocblas_complex_numIfElPS3_EEvT1_S5_T2_lS5_lPKT0_lS6_lS5_l.has_recursion, 0
	.set _ZN9rocsolver6v33100L23larf_right_kernel_smallILi64E19rocblas_complex_numIfElPS3_EEvT1_S5_T2_lS5_lPKT0_lS6_lS5_l.has_indirect_call, 0
	.section	.AMDGPU.csdata,"",@progbits
; Kernel info:
; codeLenInByte = 1328
; TotalNumSgprs: 28
; NumVgprs: 28
; ScratchSize: 0
; MemoryBound: 0
; FloatMode: 240
; IeeeMode: 1
; LDSByteSize: 16400 bytes/workgroup (compile time only)
; SGPRBlocks: 0
; VGPRBlocks: 7
; NumSGPRsForWavesPerEU: 28
; NumVGPRsForWavesPerEU: 113
; NamedBarCnt: 0
; Occupancy: 8
; WaveLimiterHint : 0
; COMPUTE_PGM_RSRC2:SCRATCH_EN: 0
; COMPUTE_PGM_RSRC2:USER_SGPR: 2
; COMPUTE_PGM_RSRC2:TRAP_HANDLER: 0
; COMPUTE_PGM_RSRC2:TGID_X_EN: 1
; COMPUTE_PGM_RSRC2:TGID_Y_EN: 1
; COMPUTE_PGM_RSRC2:TGID_Z_EN: 0
; COMPUTE_PGM_RSRC2:TIDIG_COMP_CNT: 0
	.section	.text._ZN9rocsolver6v33100L23larf_right_kernel_smallILi128E19rocblas_complex_numIfElPS3_EEvT1_S5_T2_lS5_lPKT0_lS6_lS5_l,"axG",@progbits,_ZN9rocsolver6v33100L23larf_right_kernel_smallILi128E19rocblas_complex_numIfElPS3_EEvT1_S5_T2_lS5_lPKT0_lS6_lS5_l,comdat
	.globl	_ZN9rocsolver6v33100L23larf_right_kernel_smallILi128E19rocblas_complex_numIfElPS3_EEvT1_S5_T2_lS5_lPKT0_lS6_lS5_l ; -- Begin function _ZN9rocsolver6v33100L23larf_right_kernel_smallILi128E19rocblas_complex_numIfElPS3_EEvT1_S5_T2_lS5_lPKT0_lS6_lS5_l
	.p2align	8
	.type	_ZN9rocsolver6v33100L23larf_right_kernel_smallILi128E19rocblas_complex_numIfElPS3_EEvT1_S5_T2_lS5_lPKT0_lS6_lS5_l,@function
_ZN9rocsolver6v33100L23larf_right_kernel_smallILi128E19rocblas_complex_numIfElPS3_EEvT1_S5_T2_lS5_lPKT0_lS6_lS5_l: ; @_ZN9rocsolver6v33100L23larf_right_kernel_smallILi128E19rocblas_complex_numIfElPS3_EEvT1_S5_T2_lS5_lPKT0_lS6_lS5_l
; %bb.0:
	s_load_b512 s[4:19], s[0:1], 0x0
	s_mov_b64 s[20:21], 0
	s_wait_kmcnt 0x0
	v_cmp_gt_i64_e64 s2, s[12:13], 0
	s_and_b32 vcc_lo, exec_lo, s2
	s_cbranch_vccnz .LBB26_2
; %bb.1:
	s_sub_nc_u64 s[2:3], 1, s[6:7]
	s_delay_alu instid0(SALU_CYCLE_1)
	s_mul_u64 s[20:21], s[12:13], s[2:3]
.LBB26_2:
	s_bfe_u32 s2, ttmp6, 0x4000c
	v_dual_mov_b32 v1, 0 :: v_dual_lshlrev_b32 v12, 3, v0
	s_add_co_i32 s2, s2, 1
	s_and_b32 s3, ttmp6, 15
	s_mul_i32 s22, ttmp9, s2
	s_delay_alu instid0(VALU_DEP_1)
	v_cmp_gt_i64_e64 s2, s[6:7], v[0:1]
	s_add_co_i32 s22, s3, s22
	s_getreg_b32 s3, hwreg(HW_REG_IB_STS2, 6, 4)
	s_mov_b32 s23, 0
	s_cmp_eq_u32 s3, 0
	s_cselect_b32 s22, ttmp9, s22
	s_and_saveexec_b32 s24, s2
	s_cbranch_execz .LBB26_5
; %bb.3:
	v_mul_u64_e32 v[2:3], s[12:13], v[0:1]
	s_lshl_b64 s[10:11], s[10:11], 3
	s_mul_u64 s[14:15], s[14:15], s[22:23]
	s_lshl_b64 s[20:21], s[20:21], 3
	s_add_nc_u64 s[8:9], s[8:9], s[10:11]
	s_lshl_b64 s[10:11], s[14:15], 3
	s_add_nc_u64 s[8:9], s[8:9], s[20:21]
	v_mov_b64_e32 v[4:5], v[0:1]
	s_add_nc_u64 s[8:9], s[8:9], s[10:11]
	v_lshlrev_b32_e32 v6, 3, v0
	s_mov_b32 s10, s23
	s_delay_alu instid0(VALU_DEP_3)
	v_lshl_add_u64 v[2:3], v[2:3], 3, s[8:9]
	s_lshl_b64 s[8:9], s[12:13], 10
.LBB26_4:                               ; =>This Inner Loop Header: Depth=1
	global_load_b64 v[8:9], v[2:3], off
	v_add_nc_u64_e32 v[4:5], 0x80, v[4:5]
	s_wait_xcnt 0x0
	v_add_nc_u64_e32 v[2:3], s[8:9], v[2:3]
	s_delay_alu instid0(VALU_DEP_2)
	v_cmp_le_i64_e32 vcc_lo, s[6:7], v[4:5]
	s_or_b32 s10, vcc_lo, s10
	s_wait_loadcnt 0x0
	ds_store_b64 v6, v[8:9]
	v_add_nc_u32_e32 v6, 0x400, v6
	s_and_not1_b32 exec_lo, exec_lo, s10
	s_cbranch_execnz .LBB26_4
.LBB26_5:
	s_or_b32 exec_lo, exec_lo, s24
	s_bfe_u32 s8, ttmp6, 0x40010
	s_bfe_u32 s9, ttmp6, 0x40004
	s_add_co_i32 s8, s8, 1
	s_mov_b32 s21, 0
	s_mul_i32 s8, ttmp7, s8
	s_wait_dscnt 0x0
	s_add_co_i32 s9, s9, s8
	s_cmp_eq_u32 s3, 0
	s_barrier_signal -1
	s_cselect_b32 s20, ttmp7, s9
	s_barrier_wait -1
	v_cmp_le_i64_e64 s3, s[4:5], s[20:21]
	s_and_b32 vcc_lo, exec_lo, s3
	s_cbranch_vccnz .LBB26_25
; %bb.6:
	s_load_b256 s[8:15], s[0:1], 0x40
	s_mul_u64 s[18:19], s[18:19], s[22:23]
	v_dual_lshrrev_b32 v5, 2, v0 :: v_dual_bitop2_b32 v4, 31, v0 bitop3:0x40
	s_lshl_b64 s[24:25], s[18:19], 3
	v_mbcnt_lo_u32_b32 v13, -1, 0
	s_wait_xcnt 0x0
	v_cmp_gt_i32_e64 s0, s6, v0
	v_cmp_eq_u32_e64 s1, 0, v0
	v_mov_b32_e32 v14, 0x4008
	v_cmp_eq_u32_e64 s3, 0, v4
	v_lshl_or_b32 v15, v13, 2, 64
	v_or_b32_e32 v16, 0x4000, v5
	v_mov_b32_e32 v18, 0
	s_wait_kmcnt 0x0
	v_mul_u64_e32 v[2:3], s[12:13], v[0:1]
	s_mul_u64 s[14:15], s[14:15], s[22:23]
	s_lshl_b64 s[10:11], s[10:11], 3
	s_lshl_b64 s[14:15], s[14:15], 3
	s_cmp_gt_i32 s6, 1
	v_mul_lo_u32 v17, v0, s12
	s_cselect_b32 s18, -1, 0
	s_lshl_b64 s[22:23], s[20:21], 3
	s_delay_alu instid0(SALU_CYCLE_1)
	s_add_nc_u64 s[22:23], s[8:9], s[22:23]
	s_add_nc_u64 s[8:9], s[8:9], s[14:15]
	;; [unrolled: 1-line block ×6, first 2 shown]
	s_lshl_b32 s16, s12, 7
	s_lshl_b64 s[12:13], s[12:13], 10
	s_delay_alu instid0(VALU_DEP_2)
	v_lshl_add_u64 v[2:3], v[2:3], 3, s[14:15]
	s_branch .LBB26_8
.LBB26_7:                               ;   in Loop: Header=BB26_8 Depth=1
	s_or_b32 exec_lo, exec_lo, s14
	s_add_nc_u64 s[20:21], s[20:21], 64
	v_add_nc_u64_e32 v[2:3], 0x200, v[2:3]
	v_cmp_ge_i64_e64 s14, s[20:21], s[4:5]
	s_and_b32 vcc_lo, exec_lo, s14
	s_cbranch_vccnz .LBB26_25
.LBB26_8:                               ; =>This Loop Header: Depth=1
                                        ;     Child Loop BB26_10 Depth 2
                                        ;     Child Loop BB26_24 Depth 2
	v_mov_b64_e32 v[4:5], 0
	s_and_saveexec_b32 s17, s0
	s_cbranch_execz .LBB26_12
; %bb.9:                                ;   in Loop: Header=BB26_8 Depth=1
	v_dual_mov_b32 v5, 0 :: v_dual_mov_b32 v6, v17
	v_dual_mov_b32 v7, v12 :: v_dual_mov_b32 v8, v0
	s_lshl_b64 s[14:15], s[20:21], 3
	s_delay_alu instid0(VALU_DEP_2)
	v_mov_b32_e32 v4, v5
	s_add_nc_u64 s[14:15], s[8:9], s[14:15]
	s_mov_b32 s19, 0
.LBB26_10:                              ;   Parent Loop BB26_8 Depth=1
                                        ; =>  This Inner Loop Header: Depth=2
	global_load_b64 v[10:11], v6, s[14:15] scale_offset
	ds_load_b64 v[20:21], v7
	v_add_nc_u32_e32 v8, 0x80, v8
	v_add_nc_u32_e32 v7, 0x400, v7
	s_wait_xcnt 0x0
	v_add_nc_u32_e32 v6, s16, v6
	s_delay_alu instid0(VALU_DEP_3) | instskip(SKIP_3) | instid1(VALU_DEP_1)
	v_cmp_le_i32_e32 vcc_lo, s6, v8
	s_or_b32 s19, vcc_lo, s19
	s_wait_loadcnt_dscnt 0x0
	v_dual_mul_f32 v9, v11, v21 :: v_dual_mul_f32 v23, v10, v21
	v_dual_fma_f32 v22, v10, v20, -v9 :: v_dual_fmac_f32 v23, v11, v20
	s_delay_alu instid0(VALU_DEP_1)
	v_pk_add_f32 v[4:5], v[4:5], v[22:23]
	s_and_not1_b32 exec_lo, exec_lo, s19
	s_cbranch_execnz .LBB26_10
; %bb.11:                               ;   in Loop: Header=BB26_8 Depth=1
	s_or_b32 exec_lo, exec_lo, s19
.LBB26_12:                              ;   in Loop: Header=BB26_8 Depth=1
	s_delay_alu instid0(SALU_CYCLE_1) | instskip(NEXT) | instid1(SALU_CYCLE_1)
	s_or_b32 exec_lo, exec_lo, s17
	s_and_b32 vcc_lo, exec_lo, s18
	s_cbranch_vccz .LBB26_19
; %bb.13:                               ;   in Loop: Header=BB26_8 Depth=1
	v_cmp_ne_u32_e32 vcc_lo, 31, v13
	v_add_co_ci_u32_e64 v6, null, 0, v13, vcc_lo
	v_cmp_gt_u32_e32 vcc_lo, 30, v13
	s_delay_alu instid0(VALU_DEP_2)
	v_lshlrev_b32_e32 v7, 2, v6
	v_cndmask_b32_e64 v8, 0, 2, vcc_lo
	v_cmp_gt_u32_e32 vcc_lo, 28, v13
	ds_bpermute_b32 v6, v7, v4
	ds_bpermute_b32 v7, v7, v5
	v_add_lshl_u32 v9, v8, v13, 2
	v_cndmask_b32_e64 v10, 0, 4, vcc_lo
	v_cmp_gt_u32_e32 vcc_lo, 24, v13
	s_delay_alu instid0(VALU_DEP_2)
	v_add_lshl_u32 v10, v10, v13, 2
	s_wait_dscnt 0x0
	v_pk_add_f32 v[6:7], v[4:5], v[6:7]
	ds_bpermute_b32 v8, v9, v6
	ds_bpermute_b32 v9, v9, v7
	s_wait_dscnt 0x0
	v_pk_add_f32 v[6:7], v[6:7], v[8:9]
	ds_bpermute_b32 v8, v10, v6
	ds_bpermute_b32 v9, v10, v7
	v_cndmask_b32_e64 v10, 0, 8, vcc_lo
	s_delay_alu instid0(VALU_DEP_1)
	v_add_lshl_u32 v10, v10, v13, 2
	s_wait_dscnt 0x0
	v_pk_add_f32 v[6:7], v[6:7], v[8:9]
	ds_bpermute_b32 v8, v10, v6
	ds_bpermute_b32 v9, v10, v7
	s_wait_dscnt 0x0
	v_pk_add_f32 v[6:7], v[6:7], v[8:9]
	ds_bpermute_b32 v8, v15, v6
	ds_bpermute_b32 v9, v15, v7
	s_wait_dscnt 0x0
	v_pk_add_f32 v[6:7], v[6:7], v[8:9]
	s_and_saveexec_b32 s14, s3
; %bb.14:                               ;   in Loop: Header=BB26_8 Depth=1
	ds_store_2addr_b32 v16, v6, v7 offset1:1
; %bb.15:                               ;   in Loop: Header=BB26_8 Depth=1
	s_or_b32 exec_lo, exec_lo, s14
	s_mov_b32 s15, 0
	s_mov_b32 s14, 0
	s_wait_dscnt 0x0
	s_barrier_signal -1
	s_barrier_wait -1
                                        ; implicit-def: $vgpr8_vgpr9
	s_and_saveexec_b32 s17, s1
	s_delay_alu instid0(SALU_CYCLE_1)
	s_xor_b32 s17, exec_lo, s17
	s_cbranch_execz .LBB26_17
; %bb.16:                               ;   in Loop: Header=BB26_8 Depth=1
	ds_load_2addr_b64 v[8:11], v14 offset1:1
	ds_load_b64 v[20:21], v18 offset:16408
	s_mov_b32 s14, exec_lo
	s_wait_dscnt 0x1
	v_pk_add_f32 v[6:7], v[6:7], v[8:9]
	s_delay_alu instid0(VALU_DEP_1) | instskip(SKIP_1) | instid1(VALU_DEP_1)
	v_pk_add_f32 v[6:7], v[6:7], v[10:11]
	s_wait_dscnt 0x0
	v_pk_add_f32 v[8:9], v[6:7], v[20:21]
.LBB26_17:                              ;   in Loop: Header=BB26_8 Depth=1
	s_or_b32 exec_lo, exec_lo, s17
	s_delay_alu instid0(SALU_CYCLE_1)
	s_and_b32 vcc_lo, exec_lo, s15
	s_cbranch_vccnz .LBB26_20
.LBB26_18:                              ;   in Loop: Header=BB26_8 Depth=1
	s_delay_alu instid0(VALU_DEP_1)
	v_mov_b64_e32 v[4:5], v[8:9]
	s_and_saveexec_b32 s15, s14
	s_cbranch_execnz .LBB26_21
	s_branch .LBB26_22
.LBB26_19:                              ;   in Loop: Header=BB26_8 Depth=1
	s_mov_b32 s14, 0
                                        ; implicit-def: $vgpr8_vgpr9
	s_cbranch_execz .LBB26_18
.LBB26_20:                              ;   in Loop: Header=BB26_8 Depth=1
	s_and_not1_b32 s14, s14, exec_lo
	s_and_b32 s15, s1, exec_lo
	s_delay_alu instid0(SALU_CYCLE_1) | instskip(NEXT) | instid1(SALU_CYCLE_1)
	s_or_b32 s14, s14, s15
	s_and_saveexec_b32 s15, s14
.LBB26_21:                              ;   in Loop: Header=BB26_8 Depth=1
	ds_store_b64 v18, v[4:5] offset:16384
.LBB26_22:                              ;   in Loop: Header=BB26_8 Depth=1
	s_or_b32 exec_lo, exec_lo, s15
	s_wait_dscnt 0x0
	s_barrier_signal -1
	s_barrier_wait -1
	s_and_saveexec_b32 s14, s2
	s_cbranch_execz .LBB26_7
; %bb.23:                               ;   in Loop: Header=BB26_8 Depth=1
	global_load_b64 v[4:5], v18, s[10:11]
	ds_load_b64 v[8:9], v18 offset:16384
	s_mov_b32 s15, 0
	s_wait_loadcnt_dscnt 0x0
	v_dual_mul_f32 v6, v4, v9 :: v_dual_mul_f32 v7, v4, v8
	v_xor_b32_e32 v10, 0x80000000, v5
	s_delay_alu instid0(VALU_DEP_2) | instskip(NEXT) | instid1(VALU_DEP_3)
	v_xor_b32_e32 v4, 0x80000000, v6
	v_xor_b32_e32 v6, 0x80000000, v7
	s_delay_alu instid0(VALU_DEP_1) | instskip(SKIP_2) | instid1(VALU_DEP_3)
	v_dual_fmac_f32 v4, v8, v10 :: v_dual_fmac_f32 v6, v5, v9
	v_mov_b64_e32 v[8:9], v[2:3]
	v_mov_b64_e32 v[10:11], v[0:1]
	v_dual_mov_b32 v19, v12 :: v_dual_mov_b32 v5, v4
	s_delay_alu instid0(VALU_DEP_4)
	v_mov_b32_e32 v7, v6
.LBB26_24:                              ;   Parent Loop BB26_8 Depth=1
                                        ; =>  This Inner Loop Header: Depth=2
	global_load_b64 v[20:21], v[8:9], off
	ds_load_b64 v[22:23], v19
	v_add_nc_u64_e32 v[10:11], 0x80, v[10:11]
	v_add_nc_u32_e32 v19, 0x400, v19
	s_delay_alu instid0(VALU_DEP_2) | instskip(SKIP_3) | instid1(VALU_DEP_1)
	v_cmp_le_i64_e32 vcc_lo, s[6:7], v[10:11]
	s_or_b32 s15, vcc_lo, s15
	s_wait_dscnt 0x0
	v_pk_mul_f32 v[24:25], v[6:7], v[22:23]
	v_pk_fma_f32 v[26:27], v[4:5], v[22:23], v[24:25] op_sel:[0,1,0] op_sel_hi:[1,0,1] neg_lo:[0,0,1] neg_hi:[0,0,1]
	v_pk_fma_f32 v[22:23], v[4:5], v[22:23], v[24:25] op_sel:[0,1,0] op_sel_hi:[1,0,1]
	s_delay_alu instid0(VALU_DEP_2) | instskip(SKIP_1) | instid1(VALU_DEP_1)
	v_mov_b32_e32 v23, v27
	s_wait_loadcnt 0x0
	v_pk_add_f32 v[20:21], v[20:21], v[22:23]
	global_store_b64 v[8:9], v[20:21], off
	s_wait_xcnt 0x0
	v_add_nc_u64_e32 v[8:9], s[12:13], v[8:9]
	s_and_not1_b32 exec_lo, exec_lo, s15
	s_cbranch_execnz .LBB26_24
	s_branch .LBB26_7
.LBB26_25:
	s_endpgm
	.section	.rodata,"a",@progbits
	.p2align	6, 0x0
	.amdhsa_kernel _ZN9rocsolver6v33100L23larf_right_kernel_smallILi128E19rocblas_complex_numIfElPS3_EEvT1_S5_T2_lS5_lPKT0_lS6_lS5_l
		.amdhsa_group_segment_fixed_size 16416
		.amdhsa_private_segment_fixed_size 0
		.amdhsa_kernarg_size 96
		.amdhsa_user_sgpr_count 2
		.amdhsa_user_sgpr_dispatch_ptr 0
		.amdhsa_user_sgpr_queue_ptr 0
		.amdhsa_user_sgpr_kernarg_segment_ptr 1
		.amdhsa_user_sgpr_dispatch_id 0
		.amdhsa_user_sgpr_kernarg_preload_length 0
		.amdhsa_user_sgpr_kernarg_preload_offset 0
		.amdhsa_user_sgpr_private_segment_size 0
		.amdhsa_wavefront_size32 1
		.amdhsa_uses_dynamic_stack 0
		.amdhsa_enable_private_segment 0
		.amdhsa_system_sgpr_workgroup_id_x 1
		.amdhsa_system_sgpr_workgroup_id_y 1
		.amdhsa_system_sgpr_workgroup_id_z 0
		.amdhsa_system_sgpr_workgroup_info 0
		.amdhsa_system_vgpr_workitem_id 0
		.amdhsa_next_free_vgpr 28
		.amdhsa_next_free_sgpr 26
		.amdhsa_named_barrier_count 0
		.amdhsa_reserve_vcc 1
		.amdhsa_float_round_mode_32 0
		.amdhsa_float_round_mode_16_64 0
		.amdhsa_float_denorm_mode_32 3
		.amdhsa_float_denorm_mode_16_64 3
		.amdhsa_fp16_overflow 0
		.amdhsa_memory_ordered 1
		.amdhsa_forward_progress 1
		.amdhsa_inst_pref_size 11
		.amdhsa_round_robin_scheduling 0
		.amdhsa_exception_fp_ieee_invalid_op 0
		.amdhsa_exception_fp_denorm_src 0
		.amdhsa_exception_fp_ieee_div_zero 0
		.amdhsa_exception_fp_ieee_overflow 0
		.amdhsa_exception_fp_ieee_underflow 0
		.amdhsa_exception_fp_ieee_inexact 0
		.amdhsa_exception_int_div_zero 0
	.end_amdhsa_kernel
	.section	.text._ZN9rocsolver6v33100L23larf_right_kernel_smallILi128E19rocblas_complex_numIfElPS3_EEvT1_S5_T2_lS5_lPKT0_lS6_lS5_l,"axG",@progbits,_ZN9rocsolver6v33100L23larf_right_kernel_smallILi128E19rocblas_complex_numIfElPS3_EEvT1_S5_T2_lS5_lPKT0_lS6_lS5_l,comdat
.Lfunc_end26:
	.size	_ZN9rocsolver6v33100L23larf_right_kernel_smallILi128E19rocblas_complex_numIfElPS3_EEvT1_S5_T2_lS5_lPKT0_lS6_lS5_l, .Lfunc_end26-_ZN9rocsolver6v33100L23larf_right_kernel_smallILi128E19rocblas_complex_numIfElPS3_EEvT1_S5_T2_lS5_lPKT0_lS6_lS5_l
                                        ; -- End function
	.set _ZN9rocsolver6v33100L23larf_right_kernel_smallILi128E19rocblas_complex_numIfElPS3_EEvT1_S5_T2_lS5_lPKT0_lS6_lS5_l.num_vgpr, 28
	.set _ZN9rocsolver6v33100L23larf_right_kernel_smallILi128E19rocblas_complex_numIfElPS3_EEvT1_S5_T2_lS5_lPKT0_lS6_lS5_l.num_agpr, 0
	.set _ZN9rocsolver6v33100L23larf_right_kernel_smallILi128E19rocblas_complex_numIfElPS3_EEvT1_S5_T2_lS5_lPKT0_lS6_lS5_l.numbered_sgpr, 26
	.set _ZN9rocsolver6v33100L23larf_right_kernel_smallILi128E19rocblas_complex_numIfElPS3_EEvT1_S5_T2_lS5_lPKT0_lS6_lS5_l.num_named_barrier, 0
	.set _ZN9rocsolver6v33100L23larf_right_kernel_smallILi128E19rocblas_complex_numIfElPS3_EEvT1_S5_T2_lS5_lPKT0_lS6_lS5_l.private_seg_size, 0
	.set _ZN9rocsolver6v33100L23larf_right_kernel_smallILi128E19rocblas_complex_numIfElPS3_EEvT1_S5_T2_lS5_lPKT0_lS6_lS5_l.uses_vcc, 1
	.set _ZN9rocsolver6v33100L23larf_right_kernel_smallILi128E19rocblas_complex_numIfElPS3_EEvT1_S5_T2_lS5_lPKT0_lS6_lS5_l.uses_flat_scratch, 0
	.set _ZN9rocsolver6v33100L23larf_right_kernel_smallILi128E19rocblas_complex_numIfElPS3_EEvT1_S5_T2_lS5_lPKT0_lS6_lS5_l.has_dyn_sized_stack, 0
	.set _ZN9rocsolver6v33100L23larf_right_kernel_smallILi128E19rocblas_complex_numIfElPS3_EEvT1_S5_T2_lS5_lPKT0_lS6_lS5_l.has_recursion, 0
	.set _ZN9rocsolver6v33100L23larf_right_kernel_smallILi128E19rocblas_complex_numIfElPS3_EEvT1_S5_T2_lS5_lPKT0_lS6_lS5_l.has_indirect_call, 0
	.section	.AMDGPU.csdata,"",@progbits
; Kernel info:
; codeLenInByte = 1372
; TotalNumSgprs: 28
; NumVgprs: 28
; ScratchSize: 0
; MemoryBound: 0
; FloatMode: 240
; IeeeMode: 1
; LDSByteSize: 16416 bytes/workgroup (compile time only)
; SGPRBlocks: 0
; VGPRBlocks: 1
; NumSGPRsForWavesPerEU: 28
; NumVGPRsForWavesPerEU: 28
; NamedBarCnt: 0
; Occupancy: 16
; WaveLimiterHint : 0
; COMPUTE_PGM_RSRC2:SCRATCH_EN: 0
; COMPUTE_PGM_RSRC2:USER_SGPR: 2
; COMPUTE_PGM_RSRC2:TRAP_HANDLER: 0
; COMPUTE_PGM_RSRC2:TGID_X_EN: 1
; COMPUTE_PGM_RSRC2:TGID_Y_EN: 1
; COMPUTE_PGM_RSRC2:TGID_Z_EN: 0
; COMPUTE_PGM_RSRC2:TIDIG_COMP_CNT: 0
	.section	.text._ZN9rocsolver6v33100L23larf_right_kernel_smallILi256E19rocblas_complex_numIfElPS3_EEvT1_S5_T2_lS5_lPKT0_lS6_lS5_l,"axG",@progbits,_ZN9rocsolver6v33100L23larf_right_kernel_smallILi256E19rocblas_complex_numIfElPS3_EEvT1_S5_T2_lS5_lPKT0_lS6_lS5_l,comdat
	.globl	_ZN9rocsolver6v33100L23larf_right_kernel_smallILi256E19rocblas_complex_numIfElPS3_EEvT1_S5_T2_lS5_lPKT0_lS6_lS5_l ; -- Begin function _ZN9rocsolver6v33100L23larf_right_kernel_smallILi256E19rocblas_complex_numIfElPS3_EEvT1_S5_T2_lS5_lPKT0_lS6_lS5_l
	.p2align	8
	.type	_ZN9rocsolver6v33100L23larf_right_kernel_smallILi256E19rocblas_complex_numIfElPS3_EEvT1_S5_T2_lS5_lPKT0_lS6_lS5_l,@function
_ZN9rocsolver6v33100L23larf_right_kernel_smallILi256E19rocblas_complex_numIfElPS3_EEvT1_S5_T2_lS5_lPKT0_lS6_lS5_l: ; @_ZN9rocsolver6v33100L23larf_right_kernel_smallILi256E19rocblas_complex_numIfElPS3_EEvT1_S5_T2_lS5_lPKT0_lS6_lS5_l
; %bb.0:
	s_load_b512 s[4:19], s[0:1], 0x0
	s_mov_b64 s[20:21], 0
	s_wait_kmcnt 0x0
	v_cmp_gt_i64_e64 s2, s[12:13], 0
	s_and_b32 vcc_lo, exec_lo, s2
	s_cbranch_vccnz .LBB27_2
; %bb.1:
	s_sub_nc_u64 s[2:3], 1, s[6:7]
	s_delay_alu instid0(SALU_CYCLE_1)
	s_mul_u64 s[20:21], s[12:13], s[2:3]
.LBB27_2:
	s_bfe_u32 s2, ttmp6, 0x4000c
	v_dual_mov_b32 v1, 0 :: v_dual_lshlrev_b32 v12, 3, v0
	s_add_co_i32 s2, s2, 1
	s_and_b32 s3, ttmp6, 15
	s_mul_i32 s22, ttmp9, s2
	s_delay_alu instid0(VALU_DEP_1)
	v_cmp_gt_i64_e64 s2, s[6:7], v[0:1]
	s_add_co_i32 s22, s3, s22
	s_getreg_b32 s3, hwreg(HW_REG_IB_STS2, 6, 4)
	s_mov_b32 s23, 0
	s_cmp_eq_u32 s3, 0
	s_cselect_b32 s22, ttmp9, s22
	s_and_saveexec_b32 s24, s2
	s_cbranch_execz .LBB27_5
; %bb.3:
	v_mul_u64_e32 v[2:3], s[12:13], v[0:1]
	s_lshl_b64 s[10:11], s[10:11], 3
	s_mul_u64 s[14:15], s[14:15], s[22:23]
	s_lshl_b64 s[20:21], s[20:21], 3
	s_add_nc_u64 s[8:9], s[8:9], s[10:11]
	s_lshl_b64 s[10:11], s[14:15], 3
	s_add_nc_u64 s[8:9], s[8:9], s[20:21]
	v_mov_b64_e32 v[4:5], v[0:1]
	s_add_nc_u64 s[8:9], s[8:9], s[10:11]
	v_lshlrev_b32_e32 v6, 3, v0
	s_mov_b32 s10, s23
	s_delay_alu instid0(VALU_DEP_3)
	v_lshl_add_u64 v[2:3], v[2:3], 3, s[8:9]
	s_lshl_b64 s[8:9], s[12:13], 11
.LBB27_4:                               ; =>This Inner Loop Header: Depth=1
	global_load_b64 v[8:9], v[2:3], off
	v_add_nc_u64_e32 v[4:5], 0x100, v[4:5]
	s_wait_xcnt 0x0
	v_add_nc_u64_e32 v[2:3], s[8:9], v[2:3]
	s_delay_alu instid0(VALU_DEP_2)
	v_cmp_le_i64_e32 vcc_lo, s[6:7], v[4:5]
	s_or_b32 s10, vcc_lo, s10
	s_wait_loadcnt 0x0
	ds_store_b64 v6, v[8:9]
	v_add_nc_u32_e32 v6, 0x800, v6
	s_and_not1_b32 exec_lo, exec_lo, s10
	s_cbranch_execnz .LBB27_4
.LBB27_5:
	s_or_b32 exec_lo, exec_lo, s24
	s_bfe_u32 s8, ttmp6, 0x40010
	s_bfe_u32 s9, ttmp6, 0x40004
	s_add_co_i32 s8, s8, 1
	s_mov_b32 s21, 0
	s_mul_i32 s8, ttmp7, s8
	s_wait_dscnt 0x0
	s_add_co_i32 s9, s9, s8
	s_cmp_eq_u32 s3, 0
	s_barrier_signal -1
	s_cselect_b32 s20, ttmp7, s9
	s_barrier_wait -1
	v_cmp_le_i64_e64 s3, s[4:5], s[20:21]
	s_and_b32 vcc_lo, exec_lo, s3
	s_cbranch_vccnz .LBB27_25
; %bb.6:
	s_load_b256 s[8:15], s[0:1], 0x40
	s_mul_u64 s[18:19], s[18:19], s[22:23]
	v_dual_lshrrev_b32 v5, 2, v0 :: v_dual_bitop2_b32 v4, 31, v0 bitop3:0x40
	s_lshl_b64 s[24:25], s[18:19], 3
	v_mbcnt_lo_u32_b32 v13, -1, 0
	s_wait_xcnt 0x0
	v_cmp_gt_i32_e64 s0, s6, v0
	v_cmp_eq_u32_e64 s1, 0, v0
	v_mov_b32_e32 v14, 0x4008
	v_dual_mov_b32 v15, 0x4018 :: v_dual_mov_b32 v20, 0
	v_mov_b32_e32 v16, 0x4028
	v_cmp_eq_u32_e64 s3, 0, v4
	v_lshl_or_b32 v17, v13, 2, 64
	v_or_b32_e32 v18, 0x4000, v5
	s_wait_kmcnt 0x0
	v_mul_u64_e32 v[2:3], s[12:13], v[0:1]
	s_mul_u64 s[14:15], s[14:15], s[22:23]
	s_lshl_b64 s[10:11], s[10:11], 3
	s_lshl_b64 s[14:15], s[14:15], 3
	s_cmp_gt_i32 s6, 1
	v_mul_lo_u32 v19, v0, s12
	s_cselect_b32 s18, -1, 0
	s_lshl_b64 s[22:23], s[20:21], 3
	s_delay_alu instid0(SALU_CYCLE_1)
	s_add_nc_u64 s[22:23], s[8:9], s[22:23]
	s_add_nc_u64 s[8:9], s[8:9], s[14:15]
	;; [unrolled: 1-line block ×6, first 2 shown]
	s_lshl_b32 s16, s12, 8
	s_lshl_b64 s[12:13], s[12:13], 11
	s_delay_alu instid0(VALU_DEP_2)
	v_lshl_add_u64 v[2:3], v[2:3], 3, s[14:15]
	s_branch .LBB27_8
.LBB27_7:                               ;   in Loop: Header=BB27_8 Depth=1
	s_or_b32 exec_lo, exec_lo, s14
	s_add_nc_u64 s[20:21], s[20:21], 64
	v_add_nc_u64_e32 v[2:3], 0x200, v[2:3]
	v_cmp_ge_i64_e64 s14, s[20:21], s[4:5]
	s_and_b32 vcc_lo, exec_lo, s14
	s_cbranch_vccnz .LBB27_25
.LBB27_8:                               ; =>This Loop Header: Depth=1
                                        ;     Child Loop BB27_10 Depth 2
                                        ;     Child Loop BB27_24 Depth 2
	v_mov_b64_e32 v[4:5], 0
	s_and_saveexec_b32 s17, s0
	s_cbranch_execz .LBB27_12
; %bb.9:                                ;   in Loop: Header=BB27_8 Depth=1
	v_dual_mov_b32 v4, 0 :: v_dual_mov_b32 v6, v19
	v_dual_mov_b32 v7, v12 :: v_dual_mov_b32 v8, v0
	s_lshl_b64 s[14:15], s[20:21], 3
	s_delay_alu instid0(VALU_DEP_2)
	v_mov_b32_e32 v5, v4
	s_add_nc_u64 s[14:15], s[8:9], s[14:15]
	s_mov_b32 s19, 0
.LBB27_10:                              ;   Parent Loop BB27_8 Depth=1
                                        ; =>  This Inner Loop Header: Depth=2
	global_load_b64 v[10:11], v6, s[14:15] scale_offset
	ds_load_b64 v[22:23], v7
	v_add_nc_u32_e32 v7, 0x800, v7
	s_wait_xcnt 0x0
	v_add_nc_u32_e32 v6, s16, v6
	s_wait_loadcnt_dscnt 0x0
	v_pk_mul_f32 v[24:25], v[10:11], v[22:23] op_sel:[1,1] op_sel_hi:[0,1]
	s_delay_alu instid0(VALU_DEP_1) | instskip(SKIP_2) | instid1(VALU_DEP_3)
	v_pk_fma_f32 v[26:27], v[10:11], v[22:23], v[24:25] op_sel_hi:[1,0,1]
	v_add_nc_u32_e32 v8, 0x100, v8
	v_pk_fma_f32 v[10:11], v[10:11], v[22:23], v[24:25] neg_lo:[0,0,1] neg_hi:[0,0,1]
	v_mov_b32_e32 v11, v27
	s_delay_alu instid0(VALU_DEP_3) | instskip(NEXT) | instid1(VALU_DEP_2)
	v_cmp_le_i32_e32 vcc_lo, s6, v8
	v_pk_add_f32 v[4:5], v[4:5], v[10:11]
	s_or_b32 s19, vcc_lo, s19
	s_delay_alu instid0(SALU_CYCLE_1)
	s_and_not1_b32 exec_lo, exec_lo, s19
	s_cbranch_execnz .LBB27_10
; %bb.11:                               ;   in Loop: Header=BB27_8 Depth=1
	s_or_b32 exec_lo, exec_lo, s19
.LBB27_12:                              ;   in Loop: Header=BB27_8 Depth=1
	s_delay_alu instid0(SALU_CYCLE_1) | instskip(NEXT) | instid1(SALU_CYCLE_1)
	s_or_b32 exec_lo, exec_lo, s17
	s_and_b32 vcc_lo, exec_lo, s18
	s_cbranch_vccz .LBB27_19
; %bb.13:                               ;   in Loop: Header=BB27_8 Depth=1
	v_cmp_ne_u32_e32 vcc_lo, 31, v13
	v_add_co_ci_u32_e64 v6, null, 0, v13, vcc_lo
	v_cmp_gt_u32_e32 vcc_lo, 30, v13
	s_delay_alu instid0(VALU_DEP_2)
	v_lshlrev_b32_e32 v7, 2, v6
	v_cndmask_b32_e64 v8, 0, 2, vcc_lo
	v_cmp_gt_u32_e32 vcc_lo, 28, v13
	ds_bpermute_b32 v6, v7, v4
	ds_bpermute_b32 v7, v7, v5
	v_add_lshl_u32 v9, v8, v13, 2
	v_cndmask_b32_e64 v10, 0, 4, vcc_lo
	v_cmp_gt_u32_e32 vcc_lo, 24, v13
	s_delay_alu instid0(VALU_DEP_2)
	v_add_lshl_u32 v10, v10, v13, 2
	s_wait_dscnt 0x0
	v_pk_add_f32 v[6:7], v[4:5], v[6:7]
	ds_bpermute_b32 v8, v9, v6
	ds_bpermute_b32 v9, v9, v7
	s_wait_dscnt 0x0
	v_pk_add_f32 v[6:7], v[6:7], v[8:9]
	ds_bpermute_b32 v8, v10, v6
	ds_bpermute_b32 v9, v10, v7
	v_cndmask_b32_e64 v10, 0, 8, vcc_lo
	s_delay_alu instid0(VALU_DEP_1)
	v_add_lshl_u32 v10, v10, v13, 2
	s_wait_dscnt 0x0
	v_pk_add_f32 v[6:7], v[6:7], v[8:9]
	ds_bpermute_b32 v8, v10, v6
	ds_bpermute_b32 v9, v10, v7
	s_wait_dscnt 0x0
	v_pk_add_f32 v[6:7], v[6:7], v[8:9]
	ds_bpermute_b32 v8, v17, v6
	ds_bpermute_b32 v9, v17, v7
	s_wait_dscnt 0x0
	v_pk_add_f32 v[6:7], v[6:7], v[8:9]
	s_and_saveexec_b32 s14, s3
; %bb.14:                               ;   in Loop: Header=BB27_8 Depth=1
	ds_store_2addr_b32 v18, v6, v7 offset1:1
; %bb.15:                               ;   in Loop: Header=BB27_8 Depth=1
	s_or_b32 exec_lo, exec_lo, s14
	s_mov_b32 s15, 0
	s_mov_b32 s14, 0
	s_wait_dscnt 0x0
	s_barrier_signal -1
	s_barrier_wait -1
                                        ; implicit-def: $vgpr8_vgpr9
	s_and_saveexec_b32 s17, s1
	s_delay_alu instid0(SALU_CYCLE_1)
	s_xor_b32 s17, exec_lo, s17
	s_cbranch_execz .LBB27_17
; %bb.16:                               ;   in Loop: Header=BB27_8 Depth=1
	ds_load_2addr_b64 v[8:11], v14 offset1:1
	ds_load_2addr_b64 v[22:25], v15 offset1:1
	s_mov_b32 s14, exec_lo
	s_wait_dscnt 0x1
	v_pk_add_f32 v[26:27], v[6:7], v[8:9]
	ds_load_2addr_b64 v[6:9], v16 offset1:1
	v_pk_add_f32 v[10:11], v[26:27], v[10:11]
	s_wait_dscnt 0x1
	s_delay_alu instid0(VALU_DEP_1) | instskip(SKIP_3) | instid1(VALU_DEP_1)
	v_pk_add_f32 v[10:11], v[10:11], v[22:23]
	ds_load_b64 v[22:23], v20 offset:16440
	v_pk_add_f32 v[10:11], v[10:11], v[24:25]
	s_wait_dscnt 0x1
	v_pk_add_f32 v[6:7], v[10:11], v[6:7]
	s_delay_alu instid0(VALU_DEP_1) | instskip(SKIP_1) | instid1(VALU_DEP_1)
	v_pk_add_f32 v[6:7], v[6:7], v[8:9]
	s_wait_dscnt 0x0
	v_pk_add_f32 v[8:9], v[6:7], v[22:23]
.LBB27_17:                              ;   in Loop: Header=BB27_8 Depth=1
	s_or_b32 exec_lo, exec_lo, s17
	s_delay_alu instid0(SALU_CYCLE_1)
	s_and_b32 vcc_lo, exec_lo, s15
	s_cbranch_vccnz .LBB27_20
.LBB27_18:                              ;   in Loop: Header=BB27_8 Depth=1
	s_delay_alu instid0(VALU_DEP_1)
	v_mov_b64_e32 v[4:5], v[8:9]
	s_and_saveexec_b32 s15, s14
	s_cbranch_execnz .LBB27_21
	s_branch .LBB27_22
.LBB27_19:                              ;   in Loop: Header=BB27_8 Depth=1
	s_mov_b32 s14, 0
                                        ; implicit-def: $vgpr8_vgpr9
	s_cbranch_execz .LBB27_18
.LBB27_20:                              ;   in Loop: Header=BB27_8 Depth=1
	s_and_not1_b32 s14, s14, exec_lo
	s_and_b32 s15, s1, exec_lo
	s_delay_alu instid0(SALU_CYCLE_1) | instskip(NEXT) | instid1(SALU_CYCLE_1)
	s_or_b32 s14, s14, s15
	s_and_saveexec_b32 s15, s14
.LBB27_21:                              ;   in Loop: Header=BB27_8 Depth=1
	ds_store_b64 v20, v[4:5] offset:16384
.LBB27_22:                              ;   in Loop: Header=BB27_8 Depth=1
	s_or_b32 exec_lo, exec_lo, s15
	s_wait_dscnt 0x0
	s_barrier_signal -1
	s_barrier_wait -1
	s_and_saveexec_b32 s14, s2
	s_cbranch_execz .LBB27_7
; %bb.23:                               ;   in Loop: Header=BB27_8 Depth=1
	global_load_b64 v[4:5], v20, s[10:11]
	ds_load_b64 v[8:9], v20 offset:16384
	s_mov_b32 s15, 0
	s_wait_loadcnt_dscnt 0x0
	v_dual_mul_f32 v6, v4, v9 :: v_dual_mul_f32 v7, v4, v8
	v_xor_b32_e32 v10, 0x80000000, v5
	s_delay_alu instid0(VALU_DEP_2) | instskip(NEXT) | instid1(VALU_DEP_3)
	v_xor_b32_e32 v4, 0x80000000, v6
	v_xor_b32_e32 v6, 0x80000000, v7
	s_delay_alu instid0(VALU_DEP_1) | instskip(SKIP_2) | instid1(VALU_DEP_3)
	v_dual_fmac_f32 v4, v8, v10 :: v_dual_fmac_f32 v6, v5, v9
	v_mov_b64_e32 v[8:9], v[2:3]
	v_mov_b64_e32 v[10:11], v[0:1]
	v_dual_mov_b32 v21, v12 :: v_dual_mov_b32 v5, v4
	s_delay_alu instid0(VALU_DEP_4)
	v_mov_b32_e32 v7, v6
.LBB27_24:                              ;   Parent Loop BB27_8 Depth=1
                                        ; =>  This Inner Loop Header: Depth=2
	global_load_b64 v[22:23], v[8:9], off
	ds_load_b64 v[24:25], v21
	v_add_nc_u64_e32 v[10:11], 0x100, v[10:11]
	v_add_nc_u32_e32 v21, 0x800, v21
	s_delay_alu instid0(VALU_DEP_2) | instskip(SKIP_3) | instid1(VALU_DEP_1)
	v_cmp_le_i64_e32 vcc_lo, s[6:7], v[10:11]
	s_or_b32 s15, vcc_lo, s15
	s_wait_dscnt 0x0
	v_pk_mul_f32 v[26:27], v[6:7], v[24:25]
	v_pk_fma_f32 v[28:29], v[4:5], v[24:25], v[26:27] op_sel:[0,1,0] op_sel_hi:[1,0,1] neg_lo:[0,0,1] neg_hi:[0,0,1]
	v_pk_fma_f32 v[24:25], v[4:5], v[24:25], v[26:27] op_sel:[0,1,0] op_sel_hi:[1,0,1]
	s_delay_alu instid0(VALU_DEP_2) | instskip(SKIP_1) | instid1(VALU_DEP_1)
	v_mov_b32_e32 v25, v29
	s_wait_loadcnt 0x0
	v_pk_add_f32 v[22:23], v[22:23], v[24:25]
	global_store_b64 v[8:9], v[22:23], off
	s_wait_xcnt 0x0
	v_add_nc_u64_e32 v[8:9], s[12:13], v[8:9]
	s_and_not1_b32 exec_lo, exec_lo, s15
	s_cbranch_execnz .LBB27_24
	s_branch .LBB27_7
.LBB27_25:
	s_endpgm
	.section	.rodata,"a",@progbits
	.p2align	6, 0x0
	.amdhsa_kernel _ZN9rocsolver6v33100L23larf_right_kernel_smallILi256E19rocblas_complex_numIfElPS3_EEvT1_S5_T2_lS5_lPKT0_lS6_lS5_l
		.amdhsa_group_segment_fixed_size 16448
		.amdhsa_private_segment_fixed_size 0
		.amdhsa_kernarg_size 96
		.amdhsa_user_sgpr_count 2
		.amdhsa_user_sgpr_dispatch_ptr 0
		.amdhsa_user_sgpr_queue_ptr 0
		.amdhsa_user_sgpr_kernarg_segment_ptr 1
		.amdhsa_user_sgpr_dispatch_id 0
		.amdhsa_user_sgpr_kernarg_preload_length 0
		.amdhsa_user_sgpr_kernarg_preload_offset 0
		.amdhsa_user_sgpr_private_segment_size 0
		.amdhsa_wavefront_size32 1
		.amdhsa_uses_dynamic_stack 0
		.amdhsa_enable_private_segment 0
		.amdhsa_system_sgpr_workgroup_id_x 1
		.amdhsa_system_sgpr_workgroup_id_y 1
		.amdhsa_system_sgpr_workgroup_id_z 0
		.amdhsa_system_sgpr_workgroup_info 0
		.amdhsa_system_vgpr_workitem_id 0
		.amdhsa_next_free_vgpr 30
		.amdhsa_next_free_sgpr 26
		.amdhsa_named_barrier_count 0
		.amdhsa_reserve_vcc 1
		.amdhsa_float_round_mode_32 0
		.amdhsa_float_round_mode_16_64 0
		.amdhsa_float_denorm_mode_32 3
		.amdhsa_float_denorm_mode_16_64 3
		.amdhsa_fp16_overflow 0
		.amdhsa_memory_ordered 1
		.amdhsa_forward_progress 1
		.amdhsa_inst_pref_size 12
		.amdhsa_round_robin_scheduling 0
		.amdhsa_exception_fp_ieee_invalid_op 0
		.amdhsa_exception_fp_denorm_src 0
		.amdhsa_exception_fp_ieee_div_zero 0
		.amdhsa_exception_fp_ieee_overflow 0
		.amdhsa_exception_fp_ieee_underflow 0
		.amdhsa_exception_fp_ieee_inexact 0
		.amdhsa_exception_int_div_zero 0
	.end_amdhsa_kernel
	.section	.text._ZN9rocsolver6v33100L23larf_right_kernel_smallILi256E19rocblas_complex_numIfElPS3_EEvT1_S5_T2_lS5_lPKT0_lS6_lS5_l,"axG",@progbits,_ZN9rocsolver6v33100L23larf_right_kernel_smallILi256E19rocblas_complex_numIfElPS3_EEvT1_S5_T2_lS5_lPKT0_lS6_lS5_l,comdat
.Lfunc_end27:
	.size	_ZN9rocsolver6v33100L23larf_right_kernel_smallILi256E19rocblas_complex_numIfElPS3_EEvT1_S5_T2_lS5_lPKT0_lS6_lS5_l, .Lfunc_end27-_ZN9rocsolver6v33100L23larf_right_kernel_smallILi256E19rocblas_complex_numIfElPS3_EEvT1_S5_T2_lS5_lPKT0_lS6_lS5_l
                                        ; -- End function
	.set _ZN9rocsolver6v33100L23larf_right_kernel_smallILi256E19rocblas_complex_numIfElPS3_EEvT1_S5_T2_lS5_lPKT0_lS6_lS5_l.num_vgpr, 30
	.set _ZN9rocsolver6v33100L23larf_right_kernel_smallILi256E19rocblas_complex_numIfElPS3_EEvT1_S5_T2_lS5_lPKT0_lS6_lS5_l.num_agpr, 0
	.set _ZN9rocsolver6v33100L23larf_right_kernel_smallILi256E19rocblas_complex_numIfElPS3_EEvT1_S5_T2_lS5_lPKT0_lS6_lS5_l.numbered_sgpr, 26
	.set _ZN9rocsolver6v33100L23larf_right_kernel_smallILi256E19rocblas_complex_numIfElPS3_EEvT1_S5_T2_lS5_lPKT0_lS6_lS5_l.num_named_barrier, 0
	.set _ZN9rocsolver6v33100L23larf_right_kernel_smallILi256E19rocblas_complex_numIfElPS3_EEvT1_S5_T2_lS5_lPKT0_lS6_lS5_l.private_seg_size, 0
	.set _ZN9rocsolver6v33100L23larf_right_kernel_smallILi256E19rocblas_complex_numIfElPS3_EEvT1_S5_T2_lS5_lPKT0_lS6_lS5_l.uses_vcc, 1
	.set _ZN9rocsolver6v33100L23larf_right_kernel_smallILi256E19rocblas_complex_numIfElPS3_EEvT1_S5_T2_lS5_lPKT0_lS6_lS5_l.uses_flat_scratch, 0
	.set _ZN9rocsolver6v33100L23larf_right_kernel_smallILi256E19rocblas_complex_numIfElPS3_EEvT1_S5_T2_lS5_lPKT0_lS6_lS5_l.has_dyn_sized_stack, 0
	.set _ZN9rocsolver6v33100L23larf_right_kernel_smallILi256E19rocblas_complex_numIfElPS3_EEvT1_S5_T2_lS5_lPKT0_lS6_lS5_l.has_recursion, 0
	.set _ZN9rocsolver6v33100L23larf_right_kernel_smallILi256E19rocblas_complex_numIfElPS3_EEvT1_S5_T2_lS5_lPKT0_lS6_lS5_l.has_indirect_call, 0
	.section	.AMDGPU.csdata,"",@progbits
; Kernel info:
; codeLenInByte = 1460
; TotalNumSgprs: 28
; NumVgprs: 30
; ScratchSize: 0
; MemoryBound: 0
; FloatMode: 240
; IeeeMode: 1
; LDSByteSize: 16448 bytes/workgroup (compile time only)
; SGPRBlocks: 0
; VGPRBlocks: 1
; NumSGPRsForWavesPerEU: 28
; NumVGPRsForWavesPerEU: 30
; NamedBarCnt: 0
; Occupancy: 16
; WaveLimiterHint : 0
; COMPUTE_PGM_RSRC2:SCRATCH_EN: 0
; COMPUTE_PGM_RSRC2:USER_SGPR: 2
; COMPUTE_PGM_RSRC2:TRAP_HANDLER: 0
; COMPUTE_PGM_RSRC2:TGID_X_EN: 1
; COMPUTE_PGM_RSRC2:TGID_Y_EN: 1
; COMPUTE_PGM_RSRC2:TGID_Z_EN: 0
; COMPUTE_PGM_RSRC2:TIDIG_COMP_CNT: 0
	.section	.text._ZN9rocsolver6v33100L23larf_right_kernel_smallILi512E19rocblas_complex_numIfElPS3_EEvT1_S5_T2_lS5_lPKT0_lS6_lS5_l,"axG",@progbits,_ZN9rocsolver6v33100L23larf_right_kernel_smallILi512E19rocblas_complex_numIfElPS3_EEvT1_S5_T2_lS5_lPKT0_lS6_lS5_l,comdat
	.globl	_ZN9rocsolver6v33100L23larf_right_kernel_smallILi512E19rocblas_complex_numIfElPS3_EEvT1_S5_T2_lS5_lPKT0_lS6_lS5_l ; -- Begin function _ZN9rocsolver6v33100L23larf_right_kernel_smallILi512E19rocblas_complex_numIfElPS3_EEvT1_S5_T2_lS5_lPKT0_lS6_lS5_l
	.p2align	8
	.type	_ZN9rocsolver6v33100L23larf_right_kernel_smallILi512E19rocblas_complex_numIfElPS3_EEvT1_S5_T2_lS5_lPKT0_lS6_lS5_l,@function
_ZN9rocsolver6v33100L23larf_right_kernel_smallILi512E19rocblas_complex_numIfElPS3_EEvT1_S5_T2_lS5_lPKT0_lS6_lS5_l: ; @_ZN9rocsolver6v33100L23larf_right_kernel_smallILi512E19rocblas_complex_numIfElPS3_EEvT1_S5_T2_lS5_lPKT0_lS6_lS5_l
; %bb.0:
	s_load_b512 s[4:19], s[0:1], 0x0
	s_mov_b64 s[20:21], 0
	s_wait_kmcnt 0x0
	v_cmp_gt_i64_e64 s2, s[12:13], 0
	s_and_b32 vcc_lo, exec_lo, s2
	s_cbranch_vccnz .LBB28_2
; %bb.1:
	s_sub_nc_u64 s[2:3], 1, s[6:7]
	s_delay_alu instid0(SALU_CYCLE_1)
	s_mul_u64 s[20:21], s[12:13], s[2:3]
.LBB28_2:
	s_bfe_u32 s2, ttmp6, 0x4000c
	v_dual_mov_b32 v1, 0 :: v_dual_lshlrev_b32 v12, 3, v0
	s_add_co_i32 s2, s2, 1
	s_and_b32 s3, ttmp6, 15
	s_mul_i32 s22, ttmp9, s2
	s_delay_alu instid0(VALU_DEP_1)
	v_cmp_gt_i64_e64 s2, s[6:7], v[0:1]
	s_add_co_i32 s22, s3, s22
	s_getreg_b32 s3, hwreg(HW_REG_IB_STS2, 6, 4)
	s_mov_b32 s23, 0
	s_cmp_eq_u32 s3, 0
	s_cselect_b32 s22, ttmp9, s22
	s_and_saveexec_b32 s24, s2
	s_cbranch_execz .LBB28_5
; %bb.3:
	v_mul_u64_e32 v[2:3], s[12:13], v[0:1]
	s_lshl_b64 s[10:11], s[10:11], 3
	s_mul_u64 s[14:15], s[14:15], s[22:23]
	s_lshl_b64 s[20:21], s[20:21], 3
	s_add_nc_u64 s[8:9], s[8:9], s[10:11]
	s_lshl_b64 s[10:11], s[14:15], 3
	s_add_nc_u64 s[8:9], s[8:9], s[20:21]
	v_mov_b64_e32 v[4:5], v[0:1]
	s_add_nc_u64 s[8:9], s[8:9], s[10:11]
	v_lshlrev_b32_e32 v6, 3, v0
	s_mov_b32 s10, s23
	s_delay_alu instid0(VALU_DEP_3)
	v_lshl_add_u64 v[2:3], v[2:3], 3, s[8:9]
	s_lshl_b64 s[8:9], s[12:13], 12
.LBB28_4:                               ; =>This Inner Loop Header: Depth=1
	global_load_b64 v[8:9], v[2:3], off
	v_add_nc_u64_e32 v[4:5], 0x200, v[4:5]
	s_wait_xcnt 0x0
	v_add_nc_u64_e32 v[2:3], s[8:9], v[2:3]
	s_delay_alu instid0(VALU_DEP_2)
	v_cmp_le_i64_e32 vcc_lo, s[6:7], v[4:5]
	s_or_b32 s10, vcc_lo, s10
	s_wait_loadcnt 0x0
	ds_store_b64 v6, v[8:9]
	v_add_nc_u32_e32 v6, 0x1000, v6
	s_and_not1_b32 exec_lo, exec_lo, s10
	s_cbranch_execnz .LBB28_4
.LBB28_5:
	s_or_b32 exec_lo, exec_lo, s24
	s_bfe_u32 s8, ttmp6, 0x40010
	s_bfe_u32 s9, ttmp6, 0x40004
	s_add_co_i32 s8, s8, 1
	s_mov_b32 s21, 0
	s_mul_i32 s8, ttmp7, s8
	s_wait_dscnt 0x0
	s_add_co_i32 s9, s9, s8
	s_cmp_eq_u32 s3, 0
	s_barrier_signal -1
	s_cselect_b32 s20, ttmp7, s9
	s_barrier_wait -1
	v_cmp_le_i64_e64 s3, s[4:5], s[20:21]
	s_and_b32 vcc_lo, exec_lo, s3
	s_cbranch_vccnz .LBB28_25
; %bb.6:
	s_load_b256 s[8:15], s[0:1], 0x40
	s_mul_u64 s[18:19], s[18:19], s[22:23]
	v_dual_lshrrev_b32 v5, 2, v0 :: v_dual_bitop2_b32 v4, 31, v0 bitop3:0x40
	s_lshl_b64 s[24:25], s[18:19], 3
	v_mbcnt_lo_u32_b32 v13, -1, 0
	s_wait_xcnt 0x0
	v_cmp_gt_i32_e64 s0, s6, v0
	v_cmp_eq_u32_e64 s1, 0, v0
	v_mov_b32_e32 v14, 0x4008
	v_dual_mov_b32 v15, 0x4018 :: v_dual_mov_b32 v24, 0
	v_mov_b32_e32 v16, 0x4028
	v_mov_b32_e32 v17, 0x4038
	;; [unrolled: 1-line block ×5, first 2 shown]
	v_cmp_eq_u32_e64 s3, 0, v4
	v_lshl_or_b32 v21, v13, 2, 64
	v_or_b32_e32 v22, 0x4000, v5
	s_wait_kmcnt 0x0
	v_mul_u64_e32 v[2:3], s[12:13], v[0:1]
	s_mul_u64 s[14:15], s[14:15], s[22:23]
	s_lshl_b64 s[10:11], s[10:11], 3
	s_lshl_b64 s[14:15], s[14:15], 3
	s_cmp_gt_i32 s6, 1
	v_mul_lo_u32 v23, v0, s12
	s_cselect_b32 s18, -1, 0
	s_lshl_b64 s[22:23], s[20:21], 3
	s_delay_alu instid0(SALU_CYCLE_1)
	s_add_nc_u64 s[22:23], s[8:9], s[22:23]
	s_add_nc_u64 s[8:9], s[8:9], s[14:15]
	;; [unrolled: 1-line block ×6, first 2 shown]
	s_lshl_b32 s16, s12, 9
	s_lshl_b64 s[12:13], s[12:13], 12
	s_delay_alu instid0(VALU_DEP_2)
	v_lshl_add_u64 v[2:3], v[2:3], 3, s[14:15]
	s_branch .LBB28_8
.LBB28_7:                               ;   in Loop: Header=BB28_8 Depth=1
	s_or_b32 exec_lo, exec_lo, s14
	s_add_nc_u64 s[20:21], s[20:21], 64
	v_add_nc_u64_e32 v[2:3], 0x200, v[2:3]
	v_cmp_ge_i64_e64 s14, s[20:21], s[4:5]
	s_and_b32 vcc_lo, exec_lo, s14
	s_cbranch_vccnz .LBB28_25
.LBB28_8:                               ; =>This Loop Header: Depth=1
                                        ;     Child Loop BB28_10 Depth 2
                                        ;     Child Loop BB28_24 Depth 2
	v_mov_b64_e32 v[4:5], 0
	s_and_saveexec_b32 s17, s0
	s_cbranch_execz .LBB28_12
; %bb.9:                                ;   in Loop: Header=BB28_8 Depth=1
	v_dual_mov_b32 v4, 0 :: v_dual_mov_b32 v6, v23
	v_dual_mov_b32 v7, v12 :: v_dual_mov_b32 v8, v0
	s_lshl_b64 s[14:15], s[20:21], 3
	s_delay_alu instid0(VALU_DEP_2)
	v_mov_b32_e32 v5, v4
	s_add_nc_u64 s[14:15], s[8:9], s[14:15]
	s_mov_b32 s19, 0
.LBB28_10:                              ;   Parent Loop BB28_8 Depth=1
                                        ; =>  This Inner Loop Header: Depth=2
	global_load_b64 v[10:11], v6, s[14:15] scale_offset
	ds_load_b64 v[26:27], v7
	v_add_nc_u32_e32 v7, 0x1000, v7
	s_wait_xcnt 0x0
	v_add_nc_u32_e32 v6, s16, v6
	s_wait_loadcnt_dscnt 0x0
	v_pk_mul_f32 v[28:29], v[10:11], v[26:27] op_sel:[1,1] op_sel_hi:[0,1]
	s_delay_alu instid0(VALU_DEP_1) | instskip(SKIP_2) | instid1(VALU_DEP_3)
	v_pk_fma_f32 v[30:31], v[10:11], v[26:27], v[28:29] op_sel_hi:[1,0,1]
	v_add_nc_u32_e32 v8, 0x200, v8
	v_pk_fma_f32 v[10:11], v[10:11], v[26:27], v[28:29] neg_lo:[0,0,1] neg_hi:[0,0,1]
	v_mov_b32_e32 v11, v31
	s_delay_alu instid0(VALU_DEP_3) | instskip(NEXT) | instid1(VALU_DEP_2)
	v_cmp_le_i32_e32 vcc_lo, s6, v8
	v_pk_add_f32 v[4:5], v[4:5], v[10:11]
	s_or_b32 s19, vcc_lo, s19
	s_delay_alu instid0(SALU_CYCLE_1)
	s_and_not1_b32 exec_lo, exec_lo, s19
	s_cbranch_execnz .LBB28_10
; %bb.11:                               ;   in Loop: Header=BB28_8 Depth=1
	s_or_b32 exec_lo, exec_lo, s19
.LBB28_12:                              ;   in Loop: Header=BB28_8 Depth=1
	s_delay_alu instid0(SALU_CYCLE_1) | instskip(NEXT) | instid1(SALU_CYCLE_1)
	s_or_b32 exec_lo, exec_lo, s17
	s_and_b32 vcc_lo, exec_lo, s18
	s_cbranch_vccz .LBB28_19
; %bb.13:                               ;   in Loop: Header=BB28_8 Depth=1
	v_cmp_ne_u32_e32 vcc_lo, 31, v13
	v_add_co_ci_u32_e64 v6, null, 0, v13, vcc_lo
	v_cmp_gt_u32_e32 vcc_lo, 30, v13
	s_delay_alu instid0(VALU_DEP_2)
	v_lshlrev_b32_e32 v7, 2, v6
	v_cndmask_b32_e64 v8, 0, 2, vcc_lo
	v_cmp_gt_u32_e32 vcc_lo, 28, v13
	ds_bpermute_b32 v6, v7, v4
	ds_bpermute_b32 v7, v7, v5
	v_add_lshl_u32 v9, v8, v13, 2
	v_cndmask_b32_e64 v10, 0, 4, vcc_lo
	v_cmp_gt_u32_e32 vcc_lo, 24, v13
	s_delay_alu instid0(VALU_DEP_2)
	v_add_lshl_u32 v10, v10, v13, 2
	s_wait_dscnt 0x0
	v_pk_add_f32 v[6:7], v[4:5], v[6:7]
	ds_bpermute_b32 v8, v9, v6
	ds_bpermute_b32 v9, v9, v7
	s_wait_dscnt 0x0
	v_pk_add_f32 v[6:7], v[6:7], v[8:9]
	ds_bpermute_b32 v8, v10, v6
	ds_bpermute_b32 v9, v10, v7
	v_cndmask_b32_e64 v10, 0, 8, vcc_lo
	s_delay_alu instid0(VALU_DEP_1)
	v_add_lshl_u32 v10, v10, v13, 2
	s_wait_dscnt 0x0
	v_pk_add_f32 v[6:7], v[6:7], v[8:9]
	ds_bpermute_b32 v8, v10, v6
	ds_bpermute_b32 v9, v10, v7
	s_wait_dscnt 0x0
	v_pk_add_f32 v[6:7], v[6:7], v[8:9]
	ds_bpermute_b32 v8, v21, v6
	ds_bpermute_b32 v9, v21, v7
	s_wait_dscnt 0x0
	v_pk_add_f32 v[6:7], v[6:7], v[8:9]
	s_and_saveexec_b32 s14, s3
; %bb.14:                               ;   in Loop: Header=BB28_8 Depth=1
	ds_store_2addr_b32 v22, v6, v7 offset1:1
; %bb.15:                               ;   in Loop: Header=BB28_8 Depth=1
	s_or_b32 exec_lo, exec_lo, s14
	s_mov_b32 s15, 0
	s_mov_b32 s14, 0
	s_wait_dscnt 0x0
	s_barrier_signal -1
	s_barrier_wait -1
                                        ; implicit-def: $vgpr8_vgpr9
	s_and_saveexec_b32 s17, s1
	s_delay_alu instid0(SALU_CYCLE_1)
	s_xor_b32 s17, exec_lo, s17
	s_cbranch_execz .LBB28_17
; %bb.16:                               ;   in Loop: Header=BB28_8 Depth=1
	ds_load_2addr_b64 v[8:11], v14 offset1:1
	ds_load_2addr_b64 v[26:29], v15 offset1:1
	;; [unrolled: 1-line block ×3, first 2 shown]
	s_mov_b32 s14, exec_lo
	s_wait_dscnt 0x2
	v_pk_add_f32 v[6:7], v[6:7], v[8:9]
	s_delay_alu instid0(VALU_DEP_1) | instskip(SKIP_3) | instid1(VALU_DEP_1)
	v_pk_add_f32 v[10:11], v[6:7], v[10:11]
	ds_load_2addr_b64 v[6:9], v17 offset1:1
	s_wait_dscnt 0x2
	v_pk_add_f32 v[10:11], v[10:11], v[26:27]
	v_pk_add_f32 v[10:11], v[10:11], v[28:29]
	ds_load_2addr_b64 v[26:29], v18 offset1:1
	s_wait_dscnt 0x2
	v_pk_add_f32 v[10:11], v[10:11], v[30:31]
	s_delay_alu instid0(VALU_DEP_1) | instskip(SKIP_3) | instid1(VALU_DEP_1)
	v_pk_add_f32 v[10:11], v[10:11], v[32:33]
	ds_load_2addr_b64 v[30:33], v19 offset1:1
	s_wait_dscnt 0x2
	v_pk_add_f32 v[6:7], v[10:11], v[6:7]
	v_pk_add_f32 v[6:7], v[6:7], v[8:9]
	s_wait_dscnt 0x1
	s_delay_alu instid0(VALU_DEP_1) | instskip(SKIP_4) | instid1(VALU_DEP_1)
	v_pk_add_f32 v[10:11], v[6:7], v[26:27]
	ds_load_2addr_b64 v[6:9], v20 offset1:1
	ds_load_b64 v[26:27], v24 offset:16504
	v_pk_add_f32 v[10:11], v[10:11], v[28:29]
	s_wait_dscnt 0x2
	v_pk_add_f32 v[10:11], v[10:11], v[30:31]
	s_delay_alu instid0(VALU_DEP_1) | instskip(SKIP_1) | instid1(VALU_DEP_1)
	v_pk_add_f32 v[10:11], v[10:11], v[32:33]
	s_wait_dscnt 0x1
	v_pk_add_f32 v[6:7], v[10:11], v[6:7]
	s_delay_alu instid0(VALU_DEP_1) | instskip(SKIP_1) | instid1(VALU_DEP_1)
	v_pk_add_f32 v[6:7], v[6:7], v[8:9]
	s_wait_dscnt 0x0
	v_pk_add_f32 v[8:9], v[6:7], v[26:27]
.LBB28_17:                              ;   in Loop: Header=BB28_8 Depth=1
	s_or_b32 exec_lo, exec_lo, s17
	s_delay_alu instid0(SALU_CYCLE_1)
	s_and_b32 vcc_lo, exec_lo, s15
	s_cbranch_vccnz .LBB28_20
.LBB28_18:                              ;   in Loop: Header=BB28_8 Depth=1
	s_delay_alu instid0(VALU_DEP_1)
	v_mov_b64_e32 v[4:5], v[8:9]
	s_and_saveexec_b32 s15, s14
	s_cbranch_execnz .LBB28_21
	s_branch .LBB28_22
.LBB28_19:                              ;   in Loop: Header=BB28_8 Depth=1
	s_mov_b32 s14, 0
                                        ; implicit-def: $vgpr8_vgpr9
	s_cbranch_execz .LBB28_18
.LBB28_20:                              ;   in Loop: Header=BB28_8 Depth=1
	s_and_not1_b32 s14, s14, exec_lo
	s_and_b32 s15, s1, exec_lo
	s_delay_alu instid0(SALU_CYCLE_1) | instskip(NEXT) | instid1(SALU_CYCLE_1)
	s_or_b32 s14, s14, s15
	s_and_saveexec_b32 s15, s14
.LBB28_21:                              ;   in Loop: Header=BB28_8 Depth=1
	ds_store_b64 v24, v[4:5] offset:16384
.LBB28_22:                              ;   in Loop: Header=BB28_8 Depth=1
	s_or_b32 exec_lo, exec_lo, s15
	s_wait_dscnt 0x0
	s_barrier_signal -1
	s_barrier_wait -1
	s_and_saveexec_b32 s14, s2
	s_cbranch_execz .LBB28_7
; %bb.23:                               ;   in Loop: Header=BB28_8 Depth=1
	global_load_b64 v[4:5], v24, s[10:11]
	ds_load_b64 v[8:9], v24 offset:16384
	s_mov_b32 s15, 0
	s_wait_loadcnt_dscnt 0x0
	v_dual_mul_f32 v6, v4, v9 :: v_dual_mul_f32 v7, v4, v8
	v_xor_b32_e32 v10, 0x80000000, v5
	s_delay_alu instid0(VALU_DEP_2) | instskip(NEXT) | instid1(VALU_DEP_3)
	v_xor_b32_e32 v4, 0x80000000, v6
	v_xor_b32_e32 v6, 0x80000000, v7
	s_delay_alu instid0(VALU_DEP_1) | instskip(SKIP_2) | instid1(VALU_DEP_3)
	v_dual_fmac_f32 v4, v8, v10 :: v_dual_fmac_f32 v6, v5, v9
	v_mov_b64_e32 v[8:9], v[2:3]
	v_mov_b64_e32 v[10:11], v[0:1]
	v_dual_mov_b32 v25, v12 :: v_dual_mov_b32 v5, v4
	s_delay_alu instid0(VALU_DEP_4)
	v_mov_b32_e32 v7, v6
.LBB28_24:                              ;   Parent Loop BB28_8 Depth=1
                                        ; =>  This Inner Loop Header: Depth=2
	global_load_b64 v[26:27], v[8:9], off
	ds_load_b64 v[28:29], v25
	v_add_nc_u64_e32 v[10:11], 0x200, v[10:11]
	v_add_nc_u32_e32 v25, 0x1000, v25
	s_delay_alu instid0(VALU_DEP_2) | instskip(SKIP_3) | instid1(VALU_DEP_1)
	v_cmp_le_i64_e32 vcc_lo, s[6:7], v[10:11]
	s_or_b32 s15, vcc_lo, s15
	s_wait_dscnt 0x0
	v_pk_mul_f32 v[30:31], v[6:7], v[28:29]
	v_pk_fma_f32 v[32:33], v[4:5], v[28:29], v[30:31] op_sel:[0,1,0] op_sel_hi:[1,0,1] neg_lo:[0,0,1] neg_hi:[0,0,1]
	v_pk_fma_f32 v[28:29], v[4:5], v[28:29], v[30:31] op_sel:[0,1,0] op_sel_hi:[1,0,1]
	s_delay_alu instid0(VALU_DEP_2) | instskip(SKIP_1) | instid1(VALU_DEP_1)
	v_mov_b32_e32 v29, v33
	s_wait_loadcnt 0x0
	v_pk_add_f32 v[26:27], v[26:27], v[28:29]
	global_store_b64 v[8:9], v[26:27], off
	s_wait_xcnt 0x0
	v_add_nc_u64_e32 v[8:9], s[12:13], v[8:9]
	s_and_not1_b32 exec_lo, exec_lo, s15
	s_cbranch_execnz .LBB28_24
	s_branch .LBB28_7
.LBB28_25:
	s_endpgm
	.section	.rodata,"a",@progbits
	.p2align	6, 0x0
	.amdhsa_kernel _ZN9rocsolver6v33100L23larf_right_kernel_smallILi512E19rocblas_complex_numIfElPS3_EEvT1_S5_T2_lS5_lPKT0_lS6_lS5_l
		.amdhsa_group_segment_fixed_size 16512
		.amdhsa_private_segment_fixed_size 0
		.amdhsa_kernarg_size 96
		.amdhsa_user_sgpr_count 2
		.amdhsa_user_sgpr_dispatch_ptr 0
		.amdhsa_user_sgpr_queue_ptr 0
		.amdhsa_user_sgpr_kernarg_segment_ptr 1
		.amdhsa_user_sgpr_dispatch_id 0
		.amdhsa_user_sgpr_kernarg_preload_length 0
		.amdhsa_user_sgpr_kernarg_preload_offset 0
		.amdhsa_user_sgpr_private_segment_size 0
		.amdhsa_wavefront_size32 1
		.amdhsa_uses_dynamic_stack 0
		.amdhsa_enable_private_segment 0
		.amdhsa_system_sgpr_workgroup_id_x 1
		.amdhsa_system_sgpr_workgroup_id_y 1
		.amdhsa_system_sgpr_workgroup_id_z 0
		.amdhsa_system_sgpr_workgroup_info 0
		.amdhsa_system_vgpr_workitem_id 0
		.amdhsa_next_free_vgpr 34
		.amdhsa_next_free_sgpr 26
		.amdhsa_named_barrier_count 0
		.amdhsa_reserve_vcc 1
		.amdhsa_float_round_mode_32 0
		.amdhsa_float_round_mode_16_64 0
		.amdhsa_float_denorm_mode_32 3
		.amdhsa_float_denorm_mode_16_64 3
		.amdhsa_fp16_overflow 0
		.amdhsa_memory_ordered 1
		.amdhsa_forward_progress 1
		.amdhsa_inst_pref_size 13
		.amdhsa_round_robin_scheduling 0
		.amdhsa_exception_fp_ieee_invalid_op 0
		.amdhsa_exception_fp_denorm_src 0
		.amdhsa_exception_fp_ieee_div_zero 0
		.amdhsa_exception_fp_ieee_overflow 0
		.amdhsa_exception_fp_ieee_underflow 0
		.amdhsa_exception_fp_ieee_inexact 0
		.amdhsa_exception_int_div_zero 0
	.end_amdhsa_kernel
	.section	.text._ZN9rocsolver6v33100L23larf_right_kernel_smallILi512E19rocblas_complex_numIfElPS3_EEvT1_S5_T2_lS5_lPKT0_lS6_lS5_l,"axG",@progbits,_ZN9rocsolver6v33100L23larf_right_kernel_smallILi512E19rocblas_complex_numIfElPS3_EEvT1_S5_T2_lS5_lPKT0_lS6_lS5_l,comdat
.Lfunc_end28:
	.size	_ZN9rocsolver6v33100L23larf_right_kernel_smallILi512E19rocblas_complex_numIfElPS3_EEvT1_S5_T2_lS5_lPKT0_lS6_lS5_l, .Lfunc_end28-_ZN9rocsolver6v33100L23larf_right_kernel_smallILi512E19rocblas_complex_numIfElPS3_EEvT1_S5_T2_lS5_lPKT0_lS6_lS5_l
                                        ; -- End function
	.set _ZN9rocsolver6v33100L23larf_right_kernel_smallILi512E19rocblas_complex_numIfElPS3_EEvT1_S5_T2_lS5_lPKT0_lS6_lS5_l.num_vgpr, 34
	.set _ZN9rocsolver6v33100L23larf_right_kernel_smallILi512E19rocblas_complex_numIfElPS3_EEvT1_S5_T2_lS5_lPKT0_lS6_lS5_l.num_agpr, 0
	.set _ZN9rocsolver6v33100L23larf_right_kernel_smallILi512E19rocblas_complex_numIfElPS3_EEvT1_S5_T2_lS5_lPKT0_lS6_lS5_l.numbered_sgpr, 26
	.set _ZN9rocsolver6v33100L23larf_right_kernel_smallILi512E19rocblas_complex_numIfElPS3_EEvT1_S5_T2_lS5_lPKT0_lS6_lS5_l.num_named_barrier, 0
	.set _ZN9rocsolver6v33100L23larf_right_kernel_smallILi512E19rocblas_complex_numIfElPS3_EEvT1_S5_T2_lS5_lPKT0_lS6_lS5_l.private_seg_size, 0
	.set _ZN9rocsolver6v33100L23larf_right_kernel_smallILi512E19rocblas_complex_numIfElPS3_EEvT1_S5_T2_lS5_lPKT0_lS6_lS5_l.uses_vcc, 1
	.set _ZN9rocsolver6v33100L23larf_right_kernel_smallILi512E19rocblas_complex_numIfElPS3_EEvT1_S5_T2_lS5_lPKT0_lS6_lS5_l.uses_flat_scratch, 0
	.set _ZN9rocsolver6v33100L23larf_right_kernel_smallILi512E19rocblas_complex_numIfElPS3_EEvT1_S5_T2_lS5_lPKT0_lS6_lS5_l.has_dyn_sized_stack, 0
	.set _ZN9rocsolver6v33100L23larf_right_kernel_smallILi512E19rocblas_complex_numIfElPS3_EEvT1_S5_T2_lS5_lPKT0_lS6_lS5_l.has_recursion, 0
	.set _ZN9rocsolver6v33100L23larf_right_kernel_smallILi512E19rocblas_complex_numIfElPS3_EEvT1_S5_T2_lS5_lPKT0_lS6_lS5_l.has_indirect_call, 0
	.section	.AMDGPU.csdata,"",@progbits
; Kernel info:
; codeLenInByte = 1616
; TotalNumSgprs: 28
; NumVgprs: 34
; ScratchSize: 0
; MemoryBound: 0
; FloatMode: 240
; IeeeMode: 1
; LDSByteSize: 16512 bytes/workgroup (compile time only)
; SGPRBlocks: 0
; VGPRBlocks: 2
; NumSGPRsForWavesPerEU: 28
; NumVGPRsForWavesPerEU: 34
; NamedBarCnt: 0
; Occupancy: 16
; WaveLimiterHint : 0
; COMPUTE_PGM_RSRC2:SCRATCH_EN: 0
; COMPUTE_PGM_RSRC2:USER_SGPR: 2
; COMPUTE_PGM_RSRC2:TRAP_HANDLER: 0
; COMPUTE_PGM_RSRC2:TGID_X_EN: 1
; COMPUTE_PGM_RSRC2:TGID_Y_EN: 1
; COMPUTE_PGM_RSRC2:TGID_Z_EN: 0
; COMPUTE_PGM_RSRC2:TIDIG_COMP_CNT: 0
	.section	.text._ZN9rocsolver6v33100L23larf_right_kernel_smallILi1024E19rocblas_complex_numIfElPS3_EEvT1_S5_T2_lS5_lPKT0_lS6_lS5_l,"axG",@progbits,_ZN9rocsolver6v33100L23larf_right_kernel_smallILi1024E19rocblas_complex_numIfElPS3_EEvT1_S5_T2_lS5_lPKT0_lS6_lS5_l,comdat
	.globl	_ZN9rocsolver6v33100L23larf_right_kernel_smallILi1024E19rocblas_complex_numIfElPS3_EEvT1_S5_T2_lS5_lPKT0_lS6_lS5_l ; -- Begin function _ZN9rocsolver6v33100L23larf_right_kernel_smallILi1024E19rocblas_complex_numIfElPS3_EEvT1_S5_T2_lS5_lPKT0_lS6_lS5_l
	.p2align	8
	.type	_ZN9rocsolver6v33100L23larf_right_kernel_smallILi1024E19rocblas_complex_numIfElPS3_EEvT1_S5_T2_lS5_lPKT0_lS6_lS5_l,@function
_ZN9rocsolver6v33100L23larf_right_kernel_smallILi1024E19rocblas_complex_numIfElPS3_EEvT1_S5_T2_lS5_lPKT0_lS6_lS5_l: ; @_ZN9rocsolver6v33100L23larf_right_kernel_smallILi1024E19rocblas_complex_numIfElPS3_EEvT1_S5_T2_lS5_lPKT0_lS6_lS5_l
; %bb.0:
	s_load_b512 s[4:19], s[0:1], 0x0
	s_mov_b64 s[20:21], 0
	s_wait_kmcnt 0x0
	v_cmp_gt_i64_e64 s2, s[12:13], 0
	s_and_b32 vcc_lo, exec_lo, s2
	s_cbranch_vccnz .LBB29_2
; %bb.1:
	s_sub_nc_u64 s[2:3], 1, s[6:7]
	s_delay_alu instid0(SALU_CYCLE_1)
	s_mul_u64 s[20:21], s[12:13], s[2:3]
.LBB29_2:
	s_bfe_u32 s2, ttmp6, 0x4000c
	v_dual_mov_b32 v1, 0 :: v_dual_lshlrev_b32 v12, 3, v0
	s_add_co_i32 s2, s2, 1
	s_and_b32 s3, ttmp6, 15
	s_mul_i32 s22, ttmp9, s2
	s_delay_alu instid0(VALU_DEP_1)
	v_cmp_gt_i64_e64 s2, s[6:7], v[0:1]
	s_add_co_i32 s22, s3, s22
	s_getreg_b32 s3, hwreg(HW_REG_IB_STS2, 6, 4)
	s_mov_b32 s23, 0
	s_cmp_eq_u32 s3, 0
	s_cselect_b32 s22, ttmp9, s22
	s_and_saveexec_b32 s24, s2
	s_cbranch_execz .LBB29_5
; %bb.3:
	v_mul_u64_e32 v[2:3], s[12:13], v[0:1]
	s_lshl_b64 s[10:11], s[10:11], 3
	s_mul_u64 s[14:15], s[14:15], s[22:23]
	s_lshl_b64 s[20:21], s[20:21], 3
	s_add_nc_u64 s[8:9], s[8:9], s[10:11]
	s_lshl_b64 s[10:11], s[14:15], 3
	s_add_nc_u64 s[8:9], s[8:9], s[20:21]
	v_mov_b64_e32 v[4:5], v[0:1]
	s_add_nc_u64 s[8:9], s[8:9], s[10:11]
	v_lshlrev_b32_e32 v6, 3, v0
	s_mov_b32 s10, s23
	s_delay_alu instid0(VALU_DEP_3)
	v_lshl_add_u64 v[2:3], v[2:3], 3, s[8:9]
	s_lshl_b64 s[8:9], s[12:13], 13
.LBB29_4:                               ; =>This Inner Loop Header: Depth=1
	global_load_b64 v[8:9], v[2:3], off
	v_add_nc_u64_e32 v[4:5], 0x400, v[4:5]
	s_wait_xcnt 0x0
	v_add_nc_u64_e32 v[2:3], s[8:9], v[2:3]
	s_delay_alu instid0(VALU_DEP_2)
	v_cmp_le_i64_e32 vcc_lo, s[6:7], v[4:5]
	s_or_b32 s10, vcc_lo, s10
	s_wait_loadcnt 0x0
	ds_store_b64 v6, v[8:9]
	v_add_nc_u32_e32 v6, 0x2000, v6
	s_and_not1_b32 exec_lo, exec_lo, s10
	s_cbranch_execnz .LBB29_4
.LBB29_5:
	s_or_b32 exec_lo, exec_lo, s24
	s_bfe_u32 s8, ttmp6, 0x40010
	s_bfe_u32 s9, ttmp6, 0x40004
	s_add_co_i32 s8, s8, 1
	s_mov_b32 s21, 0
	s_mul_i32 s8, ttmp7, s8
	s_wait_dscnt 0x0
	s_add_co_i32 s9, s9, s8
	s_cmp_eq_u32 s3, 0
	s_barrier_signal -1
	s_cselect_b32 s20, ttmp7, s9
	s_barrier_wait -1
	v_cmp_le_i64_e64 s3, s[4:5], s[20:21]
	s_and_b32 vcc_lo, exec_lo, s3
	s_cbranch_vccnz .LBB29_25
; %bb.6:
	s_load_b256 s[8:15], s[0:1], 0x40
	s_mul_u64 s[18:19], s[18:19], s[22:23]
	v_dual_lshrrev_b32 v5, 2, v0 :: v_dual_bitop2_b32 v4, 31, v0 bitop3:0x40
	s_lshl_b64 s[24:25], s[18:19], 3
	v_mbcnt_lo_u32_b32 v13, -1, 0
	s_wait_xcnt 0x0
	v_cmp_gt_i32_e64 s0, s6, v0
	v_cmp_eq_u32_e64 s1, 0, v0
	v_mov_b32_e32 v14, 0x4008
	v_dual_mov_b32 v15, 0x4018 :: v_dual_mov_b32 v32, 0
	v_mov_b32_e32 v16, 0x4028
	v_mov_b32_e32 v17, 0x4038
	;; [unrolled: 1-line block ×9, first 2 shown]
	s_wait_kmcnt 0x0
	v_mul_u64_e32 v[2:3], s[12:13], v[0:1]
	s_mul_u64 s[14:15], s[14:15], s[22:23]
	s_lshl_b64 s[10:11], s[10:11], 3
	s_lshl_b64 s[14:15], s[14:15], 3
	s_cmp_gt_i32 s6, 1
	v_mul_lo_u32 v31, v0, s12
	s_cselect_b32 s18, -1, 0
	s_lshl_b64 s[22:23], s[20:21], 3
	v_mov_b32_e32 v25, 0x40b8
	s_add_nc_u64 s[22:23], s[8:9], s[22:23]
	s_add_nc_u64 s[8:9], s[8:9], s[14:15]
	;; [unrolled: 1-line block ×3, first 2 shown]
	v_mov_b32_e32 v26, 0x40c8
	s_add_nc_u64 s[14:15], s[22:23], s[14:15]
	v_mov_b32_e32 v27, 0x40d8
	v_mov_b32_e32 v28, 0x40e8
	v_cmp_eq_u32_e64 s3, 0, v4
	v_lshl_or_b32 v29, v13, 2, 64
	v_or_b32_e32 v30, 0x4000, v5
	s_add_nc_u64 s[8:9], s[8:9], s[10:11]
	s_add_nc_u64 s[10:11], s[16:17], s[24:25]
	s_lshl_b32 s16, s12, 10
	s_lshl_b64 s[12:13], s[12:13], 13
	v_lshl_add_u64 v[2:3], v[2:3], 3, s[14:15]
	s_branch .LBB29_8
.LBB29_7:                               ;   in Loop: Header=BB29_8 Depth=1
	s_or_b32 exec_lo, exec_lo, s14
	s_add_nc_u64 s[20:21], s[20:21], 64
	v_add_nc_u64_e32 v[2:3], 0x200, v[2:3]
	v_cmp_ge_i64_e64 s14, s[20:21], s[4:5]
	s_and_b32 vcc_lo, exec_lo, s14
	s_cbranch_vccnz .LBB29_25
.LBB29_8:                               ; =>This Loop Header: Depth=1
                                        ;     Child Loop BB29_10 Depth 2
                                        ;     Child Loop BB29_24 Depth 2
	v_mov_b64_e32 v[4:5], 0
	s_and_saveexec_b32 s17, s0
	s_cbranch_execz .LBB29_12
; %bb.9:                                ;   in Loop: Header=BB29_8 Depth=1
	v_dual_mov_b32 v4, 0 :: v_dual_mov_b32 v6, v31
	v_dual_mov_b32 v7, v12 :: v_dual_mov_b32 v8, v0
	s_lshl_b64 s[14:15], s[20:21], 3
	s_delay_alu instid0(VALU_DEP_2)
	v_mov_b32_e32 v5, v4
	s_add_nc_u64 s[14:15], s[8:9], s[14:15]
	s_mov_b32 s19, 0
.LBB29_10:                              ;   Parent Loop BB29_8 Depth=1
                                        ; =>  This Inner Loop Header: Depth=2
	global_load_b64 v[10:11], v6, s[14:15] scale_offset
	ds_load_b64 v[34:35], v7
	v_add_nc_u32_e32 v7, 0x2000, v7
	s_wait_xcnt 0x0
	v_add_nc_u32_e32 v6, s16, v6
	s_wait_loadcnt_dscnt 0x0
	v_pk_mul_f32 v[36:37], v[10:11], v[34:35] op_sel:[1,1] op_sel_hi:[0,1]
	s_delay_alu instid0(VALU_DEP_1) | instskip(SKIP_2) | instid1(VALU_DEP_3)
	v_pk_fma_f32 v[38:39], v[10:11], v[34:35], v[36:37] op_sel_hi:[1,0,1]
	v_add_nc_u32_e32 v8, 0x400, v8
	v_pk_fma_f32 v[10:11], v[10:11], v[34:35], v[36:37] neg_lo:[0,0,1] neg_hi:[0,0,1]
	v_mov_b32_e32 v11, v39
	s_delay_alu instid0(VALU_DEP_3) | instskip(NEXT) | instid1(VALU_DEP_2)
	v_cmp_le_i32_e32 vcc_lo, s6, v8
	v_pk_add_f32 v[4:5], v[4:5], v[10:11]
	s_or_b32 s19, vcc_lo, s19
	s_delay_alu instid0(SALU_CYCLE_1)
	s_and_not1_b32 exec_lo, exec_lo, s19
	s_cbranch_execnz .LBB29_10
; %bb.11:                               ;   in Loop: Header=BB29_8 Depth=1
	s_or_b32 exec_lo, exec_lo, s19
.LBB29_12:                              ;   in Loop: Header=BB29_8 Depth=1
	s_delay_alu instid0(SALU_CYCLE_1) | instskip(NEXT) | instid1(SALU_CYCLE_1)
	s_or_b32 exec_lo, exec_lo, s17
	s_and_b32 vcc_lo, exec_lo, s18
	s_cbranch_vccz .LBB29_19
; %bb.13:                               ;   in Loop: Header=BB29_8 Depth=1
	v_cmp_ne_u32_e32 vcc_lo, 31, v13
	v_add_co_ci_u32_e64 v6, null, 0, v13, vcc_lo
	v_cmp_gt_u32_e32 vcc_lo, 30, v13
	s_delay_alu instid0(VALU_DEP_2)
	v_lshlrev_b32_e32 v7, 2, v6
	v_cndmask_b32_e64 v8, 0, 2, vcc_lo
	v_cmp_gt_u32_e32 vcc_lo, 28, v13
	ds_bpermute_b32 v6, v7, v4
	ds_bpermute_b32 v7, v7, v5
	v_add_lshl_u32 v9, v8, v13, 2
	v_cndmask_b32_e64 v10, 0, 4, vcc_lo
	v_cmp_gt_u32_e32 vcc_lo, 24, v13
	s_delay_alu instid0(VALU_DEP_2)
	v_add_lshl_u32 v10, v10, v13, 2
	s_wait_dscnt 0x0
	v_pk_add_f32 v[6:7], v[4:5], v[6:7]
	ds_bpermute_b32 v8, v9, v6
	ds_bpermute_b32 v9, v9, v7
	s_wait_dscnt 0x0
	v_pk_add_f32 v[6:7], v[6:7], v[8:9]
	ds_bpermute_b32 v8, v10, v6
	ds_bpermute_b32 v9, v10, v7
	v_cndmask_b32_e64 v10, 0, 8, vcc_lo
	s_delay_alu instid0(VALU_DEP_1)
	v_add_lshl_u32 v10, v10, v13, 2
	s_wait_dscnt 0x0
	v_pk_add_f32 v[6:7], v[6:7], v[8:9]
	ds_bpermute_b32 v8, v10, v6
	ds_bpermute_b32 v9, v10, v7
	s_wait_dscnt 0x0
	v_pk_add_f32 v[6:7], v[6:7], v[8:9]
	ds_bpermute_b32 v8, v29, v6
	ds_bpermute_b32 v9, v29, v7
	s_wait_dscnt 0x0
	v_pk_add_f32 v[6:7], v[6:7], v[8:9]
	s_and_saveexec_b32 s14, s3
; %bb.14:                               ;   in Loop: Header=BB29_8 Depth=1
	ds_store_2addr_b32 v30, v6, v7 offset1:1
; %bb.15:                               ;   in Loop: Header=BB29_8 Depth=1
	s_or_b32 exec_lo, exec_lo, s14
	s_mov_b32 s15, 0
	s_mov_b32 s14, 0
	s_wait_dscnt 0x0
	s_barrier_signal -1
	s_barrier_wait -1
                                        ; implicit-def: $vgpr8_vgpr9
	s_and_saveexec_b32 s17, s1
	s_delay_alu instid0(SALU_CYCLE_1)
	s_xor_b32 s17, exec_lo, s17
	s_cbranch_execz .LBB29_17
; %bb.16:                               ;   in Loop: Header=BB29_8 Depth=1
	ds_load_2addr_b64 v[8:11], v14 offset1:1
	ds_load_2addr_b64 v[34:37], v15 offset1:1
	;; [unrolled: 1-line block ×3, first 2 shown]
	s_mov_b32 s14, exec_lo
	s_wait_dscnt 0x2
	v_pk_add_f32 v[6:7], v[6:7], v[8:9]
	s_delay_alu instid0(VALU_DEP_1) | instskip(SKIP_3) | instid1(VALU_DEP_1)
	v_pk_add_f32 v[10:11], v[6:7], v[10:11]
	ds_load_2addr_b64 v[6:9], v17 offset1:1
	s_wait_dscnt 0x2
	v_pk_add_f32 v[10:11], v[10:11], v[34:35]
	v_pk_add_f32 v[10:11], v[10:11], v[36:37]
	ds_load_2addr_b64 v[34:37], v18 offset1:1
	s_wait_dscnt 0x2
	v_pk_add_f32 v[10:11], v[10:11], v[38:39]
	s_delay_alu instid0(VALU_DEP_1) | instskip(SKIP_3) | instid1(VALU_DEP_1)
	v_pk_add_f32 v[10:11], v[10:11], v[40:41]
	ds_load_2addr_b64 v[38:41], v19 offset1:1
	s_wait_dscnt 0x2
	v_pk_add_f32 v[6:7], v[10:11], v[6:7]
	v_pk_add_f32 v[10:11], v[6:7], v[8:9]
	ds_load_2addr_b64 v[6:9], v20 offset1:1
	;; [unrolled: 9-line block ×6, first 2 shown]
	s_wait_dscnt 0x2
	v_pk_add_f32 v[6:7], v[10:11], v[6:7]
	s_delay_alu instid0(VALU_DEP_1) | instskip(SKIP_3) | instid1(VALU_DEP_1)
	v_pk_add_f32 v[6:7], v[6:7], v[8:9]
	ds_load_b64 v[8:9], v32 offset:16632
	s_wait_dscnt 0x2
	v_pk_add_f32 v[6:7], v[6:7], v[34:35]
	v_pk_add_f32 v[6:7], v[6:7], v[36:37]
	s_wait_dscnt 0x1
	s_delay_alu instid0(VALU_DEP_1) | instskip(NEXT) | instid1(VALU_DEP_1)
	v_pk_add_f32 v[6:7], v[6:7], v[38:39]
	v_pk_add_f32 v[6:7], v[6:7], v[40:41]
	s_wait_dscnt 0x0
	s_delay_alu instid0(VALU_DEP_1)
	v_pk_add_f32 v[8:9], v[6:7], v[8:9]
.LBB29_17:                              ;   in Loop: Header=BB29_8 Depth=1
	s_or_b32 exec_lo, exec_lo, s17
	s_delay_alu instid0(SALU_CYCLE_1)
	s_and_b32 vcc_lo, exec_lo, s15
	s_cbranch_vccnz .LBB29_20
.LBB29_18:                              ;   in Loop: Header=BB29_8 Depth=1
	s_delay_alu instid0(VALU_DEP_1)
	v_mov_b64_e32 v[4:5], v[8:9]
	s_and_saveexec_b32 s15, s14
	s_cbranch_execnz .LBB29_21
	s_branch .LBB29_22
.LBB29_19:                              ;   in Loop: Header=BB29_8 Depth=1
	s_mov_b32 s14, 0
                                        ; implicit-def: $vgpr8_vgpr9
	s_cbranch_execz .LBB29_18
.LBB29_20:                              ;   in Loop: Header=BB29_8 Depth=1
	s_and_not1_b32 s14, s14, exec_lo
	s_and_b32 s15, s1, exec_lo
	s_delay_alu instid0(SALU_CYCLE_1) | instskip(NEXT) | instid1(SALU_CYCLE_1)
	s_or_b32 s14, s14, s15
	s_and_saveexec_b32 s15, s14
.LBB29_21:                              ;   in Loop: Header=BB29_8 Depth=1
	ds_store_b64 v32, v[4:5] offset:16384
.LBB29_22:                              ;   in Loop: Header=BB29_8 Depth=1
	s_or_b32 exec_lo, exec_lo, s15
	s_wait_dscnt 0x0
	s_barrier_signal -1
	s_barrier_wait -1
	s_and_saveexec_b32 s14, s2
	s_cbranch_execz .LBB29_7
; %bb.23:                               ;   in Loop: Header=BB29_8 Depth=1
	global_load_b64 v[4:5], v32, s[10:11]
	ds_load_b64 v[8:9], v32 offset:16384
	s_mov_b32 s15, 0
	s_wait_loadcnt_dscnt 0x0
	v_dual_mul_f32 v6, v4, v9 :: v_dual_mul_f32 v7, v4, v8
	v_xor_b32_e32 v10, 0x80000000, v5
	s_delay_alu instid0(VALU_DEP_2) | instskip(NEXT) | instid1(VALU_DEP_3)
	v_xor_b32_e32 v4, 0x80000000, v6
	v_xor_b32_e32 v6, 0x80000000, v7
	s_delay_alu instid0(VALU_DEP_1) | instskip(SKIP_2) | instid1(VALU_DEP_3)
	v_dual_fmac_f32 v4, v8, v10 :: v_dual_fmac_f32 v6, v5, v9
	v_mov_b64_e32 v[8:9], v[2:3]
	v_mov_b64_e32 v[10:11], v[0:1]
	v_dual_mov_b32 v33, v12 :: v_dual_mov_b32 v5, v4
	s_delay_alu instid0(VALU_DEP_4)
	v_mov_b32_e32 v7, v6
.LBB29_24:                              ;   Parent Loop BB29_8 Depth=1
                                        ; =>  This Inner Loop Header: Depth=2
	global_load_b64 v[34:35], v[8:9], off
	ds_load_b64 v[36:37], v33
	v_add_nc_u64_e32 v[10:11], 0x400, v[10:11]
	v_add_nc_u32_e32 v33, 0x2000, v33
	s_delay_alu instid0(VALU_DEP_2) | instskip(SKIP_3) | instid1(VALU_DEP_1)
	v_cmp_le_i64_e32 vcc_lo, s[6:7], v[10:11]
	s_or_b32 s15, vcc_lo, s15
	s_wait_dscnt 0x0
	v_pk_mul_f32 v[38:39], v[6:7], v[36:37]
	v_pk_fma_f32 v[40:41], v[4:5], v[36:37], v[38:39] op_sel:[0,1,0] op_sel_hi:[1,0,1] neg_lo:[0,0,1] neg_hi:[0,0,1]
	v_pk_fma_f32 v[36:37], v[4:5], v[36:37], v[38:39] op_sel:[0,1,0] op_sel_hi:[1,0,1]
	s_delay_alu instid0(VALU_DEP_2) | instskip(SKIP_1) | instid1(VALU_DEP_1)
	v_mov_b32_e32 v37, v41
	s_wait_loadcnt 0x0
	v_pk_add_f32 v[34:35], v[34:35], v[36:37]
	global_store_b64 v[8:9], v[34:35], off
	s_wait_xcnt 0x0
	v_add_nc_u64_e32 v[8:9], s[12:13], v[8:9]
	s_and_not1_b32 exec_lo, exec_lo, s15
	s_cbranch_execnz .LBB29_24
	s_branch .LBB29_7
.LBB29_25:
	s_endpgm
	.section	.rodata,"a",@progbits
	.p2align	6, 0x0
	.amdhsa_kernel _ZN9rocsolver6v33100L23larf_right_kernel_smallILi1024E19rocblas_complex_numIfElPS3_EEvT1_S5_T2_lS5_lPKT0_lS6_lS5_l
		.amdhsa_group_segment_fixed_size 16640
		.amdhsa_private_segment_fixed_size 0
		.amdhsa_kernarg_size 96
		.amdhsa_user_sgpr_count 2
		.amdhsa_user_sgpr_dispatch_ptr 0
		.amdhsa_user_sgpr_queue_ptr 0
		.amdhsa_user_sgpr_kernarg_segment_ptr 1
		.amdhsa_user_sgpr_dispatch_id 0
		.amdhsa_user_sgpr_kernarg_preload_length 0
		.amdhsa_user_sgpr_kernarg_preload_offset 0
		.amdhsa_user_sgpr_private_segment_size 0
		.amdhsa_wavefront_size32 1
		.amdhsa_uses_dynamic_stack 0
		.amdhsa_enable_private_segment 0
		.amdhsa_system_sgpr_workgroup_id_x 1
		.amdhsa_system_sgpr_workgroup_id_y 1
		.amdhsa_system_sgpr_workgroup_id_z 0
		.amdhsa_system_sgpr_workgroup_info 0
		.amdhsa_system_vgpr_workitem_id 0
		.amdhsa_next_free_vgpr 42
		.amdhsa_next_free_sgpr 26
		.amdhsa_named_barrier_count 0
		.amdhsa_reserve_vcc 1
		.amdhsa_float_round_mode_32 0
		.amdhsa_float_round_mode_16_64 0
		.amdhsa_float_denorm_mode_32 3
		.amdhsa_float_denorm_mode_16_64 3
		.amdhsa_fp16_overflow 0
		.amdhsa_memory_ordered 1
		.amdhsa_forward_progress 1
		.amdhsa_inst_pref_size 15
		.amdhsa_round_robin_scheduling 0
		.amdhsa_exception_fp_ieee_invalid_op 0
		.amdhsa_exception_fp_denorm_src 0
		.amdhsa_exception_fp_ieee_div_zero 0
		.amdhsa_exception_fp_ieee_overflow 0
		.amdhsa_exception_fp_ieee_underflow 0
		.amdhsa_exception_fp_ieee_inexact 0
		.amdhsa_exception_int_div_zero 0
	.end_amdhsa_kernel
	.section	.text._ZN9rocsolver6v33100L23larf_right_kernel_smallILi1024E19rocblas_complex_numIfElPS3_EEvT1_S5_T2_lS5_lPKT0_lS6_lS5_l,"axG",@progbits,_ZN9rocsolver6v33100L23larf_right_kernel_smallILi1024E19rocblas_complex_numIfElPS3_EEvT1_S5_T2_lS5_lPKT0_lS6_lS5_l,comdat
.Lfunc_end29:
	.size	_ZN9rocsolver6v33100L23larf_right_kernel_smallILi1024E19rocblas_complex_numIfElPS3_EEvT1_S5_T2_lS5_lPKT0_lS6_lS5_l, .Lfunc_end29-_ZN9rocsolver6v33100L23larf_right_kernel_smallILi1024E19rocblas_complex_numIfElPS3_EEvT1_S5_T2_lS5_lPKT0_lS6_lS5_l
                                        ; -- End function
	.set _ZN9rocsolver6v33100L23larf_right_kernel_smallILi1024E19rocblas_complex_numIfElPS3_EEvT1_S5_T2_lS5_lPKT0_lS6_lS5_l.num_vgpr, 42
	.set _ZN9rocsolver6v33100L23larf_right_kernel_smallILi1024E19rocblas_complex_numIfElPS3_EEvT1_S5_T2_lS5_lPKT0_lS6_lS5_l.num_agpr, 0
	.set _ZN9rocsolver6v33100L23larf_right_kernel_smallILi1024E19rocblas_complex_numIfElPS3_EEvT1_S5_T2_lS5_lPKT0_lS6_lS5_l.numbered_sgpr, 26
	.set _ZN9rocsolver6v33100L23larf_right_kernel_smallILi1024E19rocblas_complex_numIfElPS3_EEvT1_S5_T2_lS5_lPKT0_lS6_lS5_l.num_named_barrier, 0
	.set _ZN9rocsolver6v33100L23larf_right_kernel_smallILi1024E19rocblas_complex_numIfElPS3_EEvT1_S5_T2_lS5_lPKT0_lS6_lS5_l.private_seg_size, 0
	.set _ZN9rocsolver6v33100L23larf_right_kernel_smallILi1024E19rocblas_complex_numIfElPS3_EEvT1_S5_T2_lS5_lPKT0_lS6_lS5_l.uses_vcc, 1
	.set _ZN9rocsolver6v33100L23larf_right_kernel_smallILi1024E19rocblas_complex_numIfElPS3_EEvT1_S5_T2_lS5_lPKT0_lS6_lS5_l.uses_flat_scratch, 0
	.set _ZN9rocsolver6v33100L23larf_right_kernel_smallILi1024E19rocblas_complex_numIfElPS3_EEvT1_S5_T2_lS5_lPKT0_lS6_lS5_l.has_dyn_sized_stack, 0
	.set _ZN9rocsolver6v33100L23larf_right_kernel_smallILi1024E19rocblas_complex_numIfElPS3_EEvT1_S5_T2_lS5_lPKT0_lS6_lS5_l.has_recursion, 0
	.set _ZN9rocsolver6v33100L23larf_right_kernel_smallILi1024E19rocblas_complex_numIfElPS3_EEvT1_S5_T2_lS5_lPKT0_lS6_lS5_l.has_indirect_call, 0
	.section	.AMDGPU.csdata,"",@progbits
; Kernel info:
; codeLenInByte = 1912
; TotalNumSgprs: 28
; NumVgprs: 42
; ScratchSize: 0
; MemoryBound: 0
; FloatMode: 240
; IeeeMode: 1
; LDSByteSize: 16640 bytes/workgroup (compile time only)
; SGPRBlocks: 0
; VGPRBlocks: 2
; NumSGPRsForWavesPerEU: 28
; NumVGPRsForWavesPerEU: 42
; NamedBarCnt: 0
; Occupancy: 16
; WaveLimiterHint : 0
; COMPUTE_PGM_RSRC2:SCRATCH_EN: 0
; COMPUTE_PGM_RSRC2:USER_SGPR: 2
; COMPUTE_PGM_RSRC2:TRAP_HANDLER: 0
; COMPUTE_PGM_RSRC2:TGID_X_EN: 1
; COMPUTE_PGM_RSRC2:TGID_Y_EN: 1
; COMPUTE_PGM_RSRC2:TGID_Z_EN: 0
; COMPUTE_PGM_RSRC2:TIDIG_COMP_CNT: 0
	.section	.text._ZN9rocsolver6v33100L22larf_left_kernel_smallILi64E19rocblas_complex_numIfElPKPS3_EEvT1_S7_T2_lS7_lPKT0_lS8_lS7_l,"axG",@progbits,_ZN9rocsolver6v33100L22larf_left_kernel_smallILi64E19rocblas_complex_numIfElPKPS3_EEvT1_S7_T2_lS7_lPKT0_lS8_lS7_l,comdat
	.globl	_ZN9rocsolver6v33100L22larf_left_kernel_smallILi64E19rocblas_complex_numIfElPKPS3_EEvT1_S7_T2_lS7_lPKT0_lS8_lS7_l ; -- Begin function _ZN9rocsolver6v33100L22larf_left_kernel_smallILi64E19rocblas_complex_numIfElPKPS3_EEvT1_S7_T2_lS7_lPKT0_lS8_lS7_l
	.p2align	8
	.type	_ZN9rocsolver6v33100L22larf_left_kernel_smallILi64E19rocblas_complex_numIfElPKPS3_EEvT1_S7_T2_lS7_lPKT0_lS8_lS7_l,@function
_ZN9rocsolver6v33100L22larf_left_kernel_smallILi64E19rocblas_complex_numIfElPKPS3_EEvT1_S7_T2_lS7_lPKT0_lS8_lS7_l: ; @_ZN9rocsolver6v33100L22larf_left_kernel_smallILi64E19rocblas_complex_numIfElPKPS3_EEvT1_S7_T2_lS7_lPKT0_lS8_lS7_l
; %bb.0:
	s_clause 0x3
	s_load_b64 s[6:7], s[0:1], 0x20
	s_load_b256 s[8:15], s[0:1], 0x0
	s_load_b256 s[16:23], s[0:1], 0x30
	s_load_b64 s[24:25], s[0:1], 0x50
	s_wait_xcnt 0x0
	s_bfe_u32 s0, ttmp6, 0x4000c
	s_and_b32 s2, ttmp6, 15
	s_add_co_i32 s0, s0, 1
	s_getreg_b32 s1, hwreg(HW_REG_IB_STS2, 6, 4)
	s_mul_i32 s0, ttmp9, s0
	s_mov_b32 s3, 0
	s_add_co_i32 s2, s2, s0
	s_cmp_eq_u32 s1, 0
	s_mov_b64 s[26:27], 0
	s_cselect_b32 s2, ttmp9, s2
	s_wait_kmcnt 0x0
	v_cmp_gt_i64_e64 s4, s[6:7], 0
	s_and_b32 vcc_lo, exec_lo, s4
	s_cbranch_vccnz .LBB30_2
; %bb.1:
	s_sub_nc_u64 s[4:5], 1, s[8:9]
	s_delay_alu instid0(SALU_CYCLE_1)
	s_mul_u64 s[26:27], s[6:7], s[4:5]
.LBB30_2:
	s_load_b64 s[4:5], s[20:21], s2 offset:0x0 scale_offset
	v_dual_mov_b32 v1, 0 :: v_dual_lshlrev_b32 v34, 3, v0
	s_delay_alu instid0(VALU_DEP_1)
	v_cmp_gt_i64_e64 s0, s[8:9], v[0:1]
	s_wait_xcnt 0x0
	s_and_saveexec_b32 s20, s0
	s_cbranch_execz .LBB30_5
; %bb.3:
	v_mul_u64_e32 v[2:3], s[6:7], v[0:1]
	s_load_b64 s[12:13], s[12:13], s2 offset:0x0 scale_offset
	s_lshl_b64 s[14:15], s[14:15], 3
	s_lshl_b64 s[26:27], s[26:27], 3
	v_mov_b64_e32 v[4:5], v[0:1]
	v_lshlrev_b32_e32 v6, 3, v0
	s_lshl_b64 s[6:7], s[6:7], 9
	s_wait_kmcnt 0x0
	s_add_nc_u64 s[12:13], s[12:13], s[14:15]
	s_delay_alu instid0(SALU_CYCLE_1)
	s_add_nc_u64 s[12:13], s[12:13], s[26:27]
	s_delay_alu instid0(VALU_DEP_3) | instid1(SALU_CYCLE_1)
	v_lshl_add_u64 v[2:3], v[2:3], 3, s[12:13]
	s_mov_b32 s12, 0
.LBB30_4:                               ; =>This Inner Loop Header: Depth=1
	flat_load_b64 v[8:9], v[2:3]
	v_add_nc_u64_e32 v[4:5], 64, v[4:5]
	s_wait_xcnt 0x0
	v_add_nc_u64_e32 v[2:3], s[6:7], v[2:3]
	s_delay_alu instid0(VALU_DEP_2)
	v_cmp_le_i64_e32 vcc_lo, s[8:9], v[4:5]
	s_or_b32 s12, vcc_lo, s12
	s_wait_loadcnt_dscnt 0x0
	ds_store_b64 v6, v[8:9]
	v_add_nc_u32_e32 v6, 0x200, v6
	s_and_not1_b32 exec_lo, exec_lo, s12
	s_cbranch_execnz .LBB30_4
.LBB30_5:
	s_or_b32 exec_lo, exec_lo, s20
	s_bfe_u32 s6, ttmp6, 0x40010
	s_bfe_u32 s7, ttmp6, 0x40004
	s_add_co_i32 s6, s6, 1
	s_wait_dscnt 0x0
	s_mul_i32 s6, ttmp7, s6
	s_barrier_signal -1
	s_add_co_i32 s6, s7, s6
	s_cmp_eq_u32 s1, 0
	s_mov_b32 s7, 0
	s_cselect_b32 s6, ttmp7, s6
	s_barrier_wait -1
	v_cmp_le_i64_e64 s1, s[10:11], s[6:7]
	s_and_b32 vcc_lo, exec_lo, s1
	s_cbranch_vccnz .LBB30_34
; %bb.6:
	v_mov_b32_e32 v3, -1
	v_not_b32_e32 v2, v0
	s_mul_u64 s[12:13], s[18:19], s[2:3]
	s_mul_u64 s[14:15], s[24:25], s[6:7]
	s_lshl_b64 s[12:13], s[12:13], 3
	s_add_nc_u64 s[20:21], s[14:15], s[22:23]
	v_add_nc_u64_e32 v[6:7], s[8:9], v[2:3]
	v_dual_mov_b32 v3, 0 :: v_dual_lshlrev_b32 v10, 3, v0
	s_cmp_gt_i32 s8, 1
	s_add_nc_u64 s[12:13], s[16:17], s[12:13]
	v_add_nc_u64_e32 v[18:19], s[20:21], v[0:1]
	s_cselect_b32 s20, -1, 0
	s_delay_alu instid0(VALU_DEP_3)
	v_lshrrev_b64 v[8:9], 6, v[6:7]
	s_lshl_b64 s[14:15], s[14:15], 3
	s_lshl_b64 s[16:17], s[22:23], 3
	v_lshlrev_b64_e32 v[14:15], 3, v[6:7]
	s_add_nc_u64 s[14:15], s[14:15], s[16:17]
	s_mov_b64 s[18:19], 0x1fffffffffffffff
	s_wait_kmcnt 0x0
	s_add_nc_u64 s[14:15], s[4:5], s[14:15]
	v_add_nc_u64_e32 v[8:9], 1, v[8:9]
	v_dual_lshrrev_b32 v26, 2, v0 :: v_dual_bitop2_b32 v2, 31, v0 bitop3:0x40
	v_or_b32_e32 v4, 64, v0
	v_mbcnt_lo_u32_b32 v35, -1, 0
	v_cmp_lt_u64_e32 vcc_lo, s[18:19], v[6:7]
	v_lshl_add_u64 v[18:19], v[18:19], 3, s[4:5]
	v_dual_mov_b32 v13, v9 :: v_dual_bitop2_b32 v12, -2, v8 bitop3:0x40
	v_cmp_gt_u64_e64 s21, 0xc0, v[6:7]
	v_cmp_lt_u64_e64 s4, 0xbf, v[6:7]
	v_cmp_gt_i32_e64 s1, s8, v0
	v_cmp_eq_u32_e64 s2, 0, v0
	v_lshlrev_b64_e32 v[16:17], 6, v[12:13]
	v_mov_b32_e32 v11, v3
	v_cmp_ne_u64_e64 s5, v[8:9], v[12:13]
	v_cmp_eq_u32_e64 s3, 0, v2
	v_and_b32_e32 v14, 0xfffffe00, v14
	v_dual_mov_b32 v2, v0 :: v_dual_mov_b32 v5, v3
	v_or_b32_e32 v16, v16, v0
	v_add_nc_u64_e32 v[20:21], s[14:15], v[10:11]
	v_lshl_or_b32 v36, v35, 2, 64
	v_or_b32_e32 v37, 0x4000, v26
	s_lshl_b64 s[16:17], s[24:25], 9
	v_lshlrev_b64_e32 v[24:25], 3, v[16:17]
	s_mov_b64 s[18:19], 0
	s_xor_b32 s22, vcc_lo, -1
	v_add_nc_u64_e32 v[22:23], 0x204, v[20:21]
	s_branch .LBB30_8
.LBB30_7:                               ;   in Loop: Header=BB30_8 Depth=1
	s_or_b32 exec_lo, exec_lo, s23
	s_add_nc_u64 s[6:7], s[6:7], 64
	v_add_nc_u64_e32 v[20:21], s[16:17], v[20:21]
	v_cmp_ge_i64_e64 s23, s[6:7], s[10:11]
	v_add_nc_u64_e32 v[22:23], s[16:17], v[22:23]
	s_add_nc_u64 s[18:19], s[18:19], 1
	s_add_nc_u64 s[14:15], s[14:15], s[16:17]
	s_and_b32 vcc_lo, exec_lo, s23
	s_cbranch_vccnz .LBB30_34
.LBB30_8:                               ; =>This Loop Header: Depth=1
                                        ;     Child Loop BB30_10 Depth 2
                                        ;     Child Loop BB30_26 Depth 2
	;; [unrolled: 1-line block ×3, first 2 shown]
	v_mov_b64_e32 v[6:7], 0
	s_and_saveexec_b32 s23, s1
	s_cbranch_execz .LBB30_12
; %bb.9:                                ;   in Loop: Header=BB30_8 Depth=1
	v_dual_mov_b32 v6, 0 :: v_dual_mov_b32 v26, v34
	v_mov_b64_e32 v[8:9], v[20:21]
	v_mov_b32_e32 v27, v0
	s_mov_b32 s24, 0
	s_delay_alu instid0(VALU_DEP_3)
	v_mov_b32_e32 v7, v6
.LBB30_10:                              ;   Parent Loop BB30_8 Depth=1
                                        ; =>  This Inner Loop Header: Depth=2
	flat_load_b64 v[28:29], v[8:9]
	ds_load_b64 v[30:31], v26
	s_wait_xcnt 0x0
	v_add_nc_u64_e32 v[8:9], 0x200, v[8:9]
	v_add_nc_u32_e32 v27, 64, v27
	v_add_nc_u32_e32 v26, 0x200, v26
	s_delay_alu instid0(VALU_DEP_2)
	v_cmp_le_i32_e32 vcc_lo, s8, v27
	s_or_b32 s24, vcc_lo, s24
	s_wait_dscnt 0x0
	v_mov_b32_e32 v38, v31
	s_wait_loadcnt 0x0
	v_pk_mul_f32 v[32:33], v[28:29], v[30:31] op_sel_hi:[1,0]
	s_delay_alu instid0(VALU_DEP_1) | instskip(NEXT) | instid1(VALU_DEP_3)
	v_pk_fma_f32 v[30:31], v[28:29], v[30:31], v[32:33] op_sel:[1,1,0] op_sel_hi:[0,1,1] neg_lo:[0,0,1] neg_hi:[0,0,1]
	v_pk_fma_f32 v[28:29], v[28:29], v[38:39], v[32:33] op_sel:[1,0,0] op_sel_hi:[0,1,1]
	s_delay_alu instid0(VALU_DEP_2) | instskip(NEXT) | instid1(VALU_DEP_1)
	v_mov_b32_e32 v29, v31
	v_pk_add_f32 v[6:7], v[6:7], v[28:29]
	s_and_not1_b32 exec_lo, exec_lo, s24
	s_cbranch_execnz .LBB30_10
; %bb.11:                               ;   in Loop: Header=BB30_8 Depth=1
	s_or_b32 exec_lo, exec_lo, s24
.LBB30_12:                              ;   in Loop: Header=BB30_8 Depth=1
	s_delay_alu instid0(SALU_CYCLE_1) | instskip(NEXT) | instid1(SALU_CYCLE_1)
	s_or_b32 exec_lo, exec_lo, s23
	s_and_b32 vcc_lo, exec_lo, s20
	s_cbranch_vccz .LBB30_19
; %bb.13:                               ;   in Loop: Header=BB30_8 Depth=1
	v_cmp_ne_u32_e32 vcc_lo, 31, v35
	v_add_co_ci_u32_e64 v8, null, 0, v35, vcc_lo
	v_cmp_gt_u32_e32 vcc_lo, 30, v35
	s_delay_alu instid0(VALU_DEP_2)
	v_lshlrev_b32_e32 v9, 2, v8
	v_cndmask_b32_e64 v26, 0, 2, vcc_lo
	v_cmp_gt_u32_e32 vcc_lo, 28, v35
	ds_bpermute_b32 v8, v9, v6
	ds_bpermute_b32 v9, v9, v7
	v_add_lshl_u32 v27, v26, v35, 2
	v_cndmask_b32_e64 v28, 0, 4, vcc_lo
	v_cmp_gt_u32_e32 vcc_lo, 24, v35
	s_delay_alu instid0(VALU_DEP_2)
	v_add_lshl_u32 v28, v28, v35, 2
	s_wait_dscnt 0x0
	v_pk_add_f32 v[8:9], v[6:7], v[8:9]
	ds_bpermute_b32 v26, v27, v8
	ds_bpermute_b32 v27, v27, v9
	s_wait_dscnt 0x0
	v_pk_add_f32 v[8:9], v[8:9], v[26:27]
	ds_bpermute_b32 v26, v28, v8
	ds_bpermute_b32 v27, v28, v9
	v_cndmask_b32_e64 v28, 0, 8, vcc_lo
	s_delay_alu instid0(VALU_DEP_1)
	v_add_lshl_u32 v28, v28, v35, 2
	s_wait_dscnt 0x0
	v_pk_add_f32 v[8:9], v[8:9], v[26:27]
	ds_bpermute_b32 v26, v28, v8
	ds_bpermute_b32 v27, v28, v9
	s_wait_dscnt 0x0
	v_pk_add_f32 v[8:9], v[8:9], v[26:27]
	ds_bpermute_b32 v26, v36, v8
	ds_bpermute_b32 v27, v36, v9
	s_wait_dscnt 0x0
	v_pk_add_f32 v[26:27], v[8:9], v[26:27]
	s_and_saveexec_b32 s23, s3
; %bb.14:                               ;   in Loop: Header=BB30_8 Depth=1
	ds_store_2addr_b32 v37, v26, v27 offset1:1
; %bb.15:                               ;   in Loop: Header=BB30_8 Depth=1
	s_or_b32 exec_lo, exec_lo, s23
	s_mov_b32 s24, 0
	s_mov_b32 s23, 0
	s_wait_dscnt 0x0
	s_barrier_signal -1
	s_barrier_wait -1
                                        ; implicit-def: $vgpr8_vgpr9
	s_and_saveexec_b32 s25, s2
	s_delay_alu instid0(SALU_CYCLE_1)
	s_xor_b32 s25, exec_lo, s25
	s_cbranch_execz .LBB30_17
; %bb.16:                               ;   in Loop: Header=BB30_8 Depth=1
	ds_load_b64 v[8:9], v3 offset:16392
	s_mov_b32 s23, exec_lo
	s_wait_dscnt 0x0
	v_pk_add_f32 v[8:9], v[26:27], v[8:9]
.LBB30_17:                              ;   in Loop: Header=BB30_8 Depth=1
	s_or_b32 exec_lo, exec_lo, s25
	s_delay_alu instid0(SALU_CYCLE_1)
	s_and_b32 vcc_lo, exec_lo, s24
	s_cbranch_vccnz .LBB30_20
.LBB30_18:                              ;   in Loop: Header=BB30_8 Depth=1
	s_delay_alu instid0(VALU_DEP_1)
	v_mov_b64_e32 v[6:7], v[8:9]
	s_and_saveexec_b32 s24, s23
	s_cbranch_execnz .LBB30_21
	s_branch .LBB30_22
.LBB30_19:                              ;   in Loop: Header=BB30_8 Depth=1
	s_mov_b32 s23, 0
                                        ; implicit-def: $vgpr8_vgpr9
	s_cbranch_execz .LBB30_18
.LBB30_20:                              ;   in Loop: Header=BB30_8 Depth=1
	s_and_not1_b32 s23, s23, exec_lo
	s_and_b32 s24, s2, exec_lo
	s_delay_alu instid0(SALU_CYCLE_1) | instskip(NEXT) | instid1(SALU_CYCLE_1)
	s_or_b32 s23, s23, s24
	s_and_saveexec_b32 s24, s23
.LBB30_21:                              ;   in Loop: Header=BB30_8 Depth=1
	ds_store_b64 v3, v[6:7] offset:16384
.LBB30_22:                              ;   in Loop: Header=BB30_8 Depth=1
	s_or_b32 exec_lo, exec_lo, s24
	s_wait_dscnt 0x0
	s_barrier_signal -1
	s_barrier_wait -1
	s_and_saveexec_b32 s23, s0
	s_cbranch_execz .LBB30_7
; %bb.23:                               ;   in Loop: Header=BB30_8 Depth=1
	global_load_b64 v[8:9], v3, s[12:13]
	ds_load_b64 v[30:31], v3 offset:16384
	s_mov_b32 s25, s21
	s_wait_loadcnt_dscnt 0x0
	v_dual_mul_f32 v6, v9, v31 :: v_dual_mul_f32 v7, v9, v30
	v_xor_b32_e32 v9, 0x80000000, v8
	s_delay_alu instid0(VALU_DEP_2) | instskip(NEXT) | instid1(VALU_DEP_3)
	v_xor_b32_e32 v26, 0x80000000, v6
	v_xor_b32_e32 v28, 0x80000000, v7
	v_mov_b64_e32 v[6:7], v[0:1]
	s_delay_alu instid0(VALU_DEP_2)
	v_dual_fmac_f32 v26, v30, v9 :: v_dual_fmac_f32 v28, v8, v31
	v_mov_b64_e32 v[8:9], v[10:11]
	s_wait_xcnt 0x0
	s_and_saveexec_b32 s24, s4
	s_cbranch_execz .LBB30_31
; %bb.24:                               ;   in Loop: Header=BB30_8 Depth=1
	v_mad_nc_u64_u32 v[6:7], s16, s18, v[18:19]
	s_mul_i32 s25, s17, s18
	s_mul_i32 s26, s16, s19
	s_delay_alu instid0(VALU_DEP_1) | instid1(SALU_CYCLE_1)
	v_add3_u32 v7, s26, s25, v7
	s_mov_b32 s26, -1
	s_delay_alu instid0(VALU_DEP_1) | instskip(NEXT) | instid1(VALU_DEP_1)
	v_add_nc_u64_e32 v[8:9], v[6:7], v[14:15]
	v_cmp_ge_u64_e32 vcc_lo, v[8:9], v[6:7]
	v_mov_b64_e32 v[6:7], v[0:1]
	v_mov_b64_e32 v[8:9], v[10:11]
	s_and_b32 s27, vcc_lo, s22
	s_delay_alu instid0(SALU_CYCLE_1)
	s_and_saveexec_b32 s25, s27
	s_cbranch_execz .LBB30_30
; %bb.25:                               ;   in Loop: Header=BB30_8 Depth=1
	v_mov_b64_e32 v[8:9], v[4:5]
	v_mov_b64_e32 v[30:31], v[12:13]
	;; [unrolled: 1-line block ×4, first 2 shown]
	v_dual_mov_b32 v27, v26 :: v_dual_mov_b32 v29, v28
	s_mov_b32 s26, 0
.LBB30_26:                              ;   Parent Loop BB30_8 Depth=1
                                        ; =>  This Inner Loop Header: Depth=2
	s_clause 0x1
	flat_load_b64 v[38:39], v[32:33] offset:-516
	flat_load_b64 v[40:41], v[32:33] offset:-4
	v_dual_lshlrev_b32 v42, 3, v8 :: v_dual_lshlrev_b32 v44, 3, v6
	v_add_nc_u64_e32 v[30:31], -2, v[30:31]
	v_add_nc_u64_e32 v[8:9], 0x80, v[8:9]
	ds_load_b64 v[42:43], v42
	ds_load_b64 v[44:45], v44
	v_add_nc_u64_e32 v[6:7], 0x80, v[6:7]
	v_cmp_eq_u64_e32 vcc_lo, 0, v[30:31]
	s_or_b32 s26, vcc_lo, s26
	s_wait_dscnt 0x0
	v_dual_mov_b32 v47, v42 :: v_dual_mov_b32 v42, v45
	v_mov_b32_e32 v46, v44
	s_delay_alu instid0(VALU_DEP_2) | instskip(SKIP_1) | instid1(VALU_DEP_2)
	v_pk_mul_f32 v[44:45], v[28:29], v[42:43]
	v_pk_mul_f32 v[42:43], v[26:27], v[42:43]
	v_pk_fma_f32 v[44:45], v[26:27], v[46:47], v[44:45] neg_lo:[0,0,1] neg_hi:[0,0,1]
	s_delay_alu instid0(VALU_DEP_2) | instskip(SKIP_3) | instid1(VALU_DEP_2)
	v_pk_fma_f32 v[42:43], v[28:29], v[46:47], v[42:43]
	s_wait_loadcnt 0x0
	v_dual_mov_b32 v46, v38 :: v_dual_mov_b32 v47, v40
	v_mov_b32_e32 v40, v39
	v_pk_add_f32 v[38:39], v[46:47], v[44:45]
	s_delay_alu instid0(VALU_DEP_2) | instskip(NEXT) | instid1(VALU_DEP_1)
	v_pk_add_f32 v[40:41], v[42:43], v[40:41]
	v_dual_mov_b32 v42, v38 :: v_dual_mov_b32 v43, v40
	s_delay_alu instid0(VALU_DEP_3)
	v_mov_b32_e32 v40, v39
	s_clause 0x1
	flat_store_b64 v[32:33], v[42:43] offset:-516
	flat_store_b64 v[32:33], v[40:41] offset:-4
	s_wait_xcnt 0x0
	v_add_nc_u64_e32 v[32:33], 0x400, v[32:33]
	s_and_not1_b32 exec_lo, exec_lo, s26
	s_cbranch_execnz .LBB30_26
; %bb.27:                               ;   in Loop: Header=BB30_8 Depth=1
	s_or_b32 exec_lo, exec_lo, s26
	s_mov_b32 s26, 0
	s_and_saveexec_b32 s27, s5
; %bb.28:                               ;   in Loop: Header=BB30_8 Depth=1
	s_mov_b32 s26, exec_lo
; %bb.29:                               ;   in Loop: Header=BB30_8 Depth=1
	s_or_b32 exec_lo, exec_lo, s27
	v_mov_b64_e32 v[6:7], v[16:17]
	v_mov_b64_e32 v[8:9], v[24:25]
	s_or_not1_b32 s26, s26, exec_lo
.LBB30_30:                              ;   in Loop: Header=BB30_8 Depth=1
	s_or_b32 exec_lo, exec_lo, s25
	s_delay_alu instid0(SALU_CYCLE_1) | instskip(SKIP_1) | instid1(SALU_CYCLE_1)
	s_and_not1_b32 s25, s21, exec_lo
	s_and_b32 s26, s26, exec_lo
	s_or_b32 s25, s25, s26
.LBB30_31:                              ;   in Loop: Header=BB30_8 Depth=1
	s_or_b32 exec_lo, exec_lo, s24
	s_delay_alu instid0(SALU_CYCLE_1)
	s_and_b32 exec_lo, exec_lo, s25
	s_cbranch_execz .LBB30_7
; %bb.32:                               ;   in Loop: Header=BB30_8 Depth=1
	v_add_nc_u64_e32 v[8:9], s[14:15], v[8:9]
	v_dual_mov_b32 v29, v28 :: v_dual_mov_b32 v27, v26
	v_lshlrev_b32_e32 v30, 3, v6
	s_mov_b32 s24, 0
.LBB30_33:                              ;   Parent Loop BB30_8 Depth=1
                                        ; =>  This Inner Loop Header: Depth=2
	flat_load_b64 v[32:33], v[8:9]
	ds_load_b64 v[38:39], v30
	v_add_nc_u64_e32 v[6:7], 64, v[6:7]
	v_add_nc_u32_e32 v30, 0x200, v30
	s_delay_alu instid0(VALU_DEP_2) | instskip(SKIP_3) | instid1(VALU_DEP_1)
	v_cmp_le_i64_e32 vcc_lo, s[8:9], v[6:7]
	s_or_b32 s24, vcc_lo, s24
	s_wait_dscnt 0x0
	v_pk_mul_f32 v[40:41], v[28:29], v[38:39] op_sel:[0,1] op_sel_hi:[1,0]
	v_pk_fma_f32 v[42:43], v[26:27], v[38:39], v[40:41]
	v_pk_fma_f32 v[38:39], v[26:27], v[38:39], v[40:41] neg_lo:[0,0,1] neg_hi:[0,0,1]
	s_delay_alu instid0(VALU_DEP_2) | instskip(SKIP_1) | instid1(VALU_DEP_1)
	v_mov_b32_e32 v39, v43
	s_wait_loadcnt 0x0
	v_pk_add_f32 v[32:33], v[32:33], v[38:39]
	flat_store_b64 v[8:9], v[32:33]
	s_wait_xcnt 0x0
	v_add_nc_u64_e32 v[8:9], 0x200, v[8:9]
	s_and_not1_b32 exec_lo, exec_lo, s24
	s_cbranch_execnz .LBB30_33
	s_branch .LBB30_7
.LBB30_34:
	s_endpgm
	.section	.rodata,"a",@progbits
	.p2align	6, 0x0
	.amdhsa_kernel _ZN9rocsolver6v33100L22larf_left_kernel_smallILi64E19rocblas_complex_numIfElPKPS3_EEvT1_S7_T2_lS7_lPKT0_lS8_lS7_l
		.amdhsa_group_segment_fixed_size 16896
		.amdhsa_private_segment_fixed_size 0
		.amdhsa_kernarg_size 96
		.amdhsa_user_sgpr_count 2
		.amdhsa_user_sgpr_dispatch_ptr 0
		.amdhsa_user_sgpr_queue_ptr 0
		.amdhsa_user_sgpr_kernarg_segment_ptr 1
		.amdhsa_user_sgpr_dispatch_id 0
		.amdhsa_user_sgpr_kernarg_preload_length 0
		.amdhsa_user_sgpr_kernarg_preload_offset 0
		.amdhsa_user_sgpr_private_segment_size 0
		.amdhsa_wavefront_size32 1
		.amdhsa_uses_dynamic_stack 0
		.amdhsa_enable_private_segment 0
		.amdhsa_system_sgpr_workgroup_id_x 1
		.amdhsa_system_sgpr_workgroup_id_y 1
		.amdhsa_system_sgpr_workgroup_id_z 0
		.amdhsa_system_sgpr_workgroup_info 0
		.amdhsa_system_vgpr_workitem_id 0
		.amdhsa_next_free_vgpr 113
		.amdhsa_next_free_sgpr 28
		.amdhsa_named_barrier_count 0
		.amdhsa_reserve_vcc 1
		.amdhsa_float_round_mode_32 0
		.amdhsa_float_round_mode_16_64 0
		.amdhsa_float_denorm_mode_32 3
		.amdhsa_float_denorm_mode_16_64 3
		.amdhsa_fp16_overflow 0
		.amdhsa_memory_ordered 1
		.amdhsa_forward_progress 1
		.amdhsa_inst_pref_size 16
		.amdhsa_round_robin_scheduling 0
		.amdhsa_exception_fp_ieee_invalid_op 0
		.amdhsa_exception_fp_denorm_src 0
		.amdhsa_exception_fp_ieee_div_zero 0
		.amdhsa_exception_fp_ieee_overflow 0
		.amdhsa_exception_fp_ieee_underflow 0
		.amdhsa_exception_fp_ieee_inexact 0
		.amdhsa_exception_int_div_zero 0
	.end_amdhsa_kernel
	.section	.text._ZN9rocsolver6v33100L22larf_left_kernel_smallILi64E19rocblas_complex_numIfElPKPS3_EEvT1_S7_T2_lS7_lPKT0_lS8_lS7_l,"axG",@progbits,_ZN9rocsolver6v33100L22larf_left_kernel_smallILi64E19rocblas_complex_numIfElPKPS3_EEvT1_S7_T2_lS7_lPKT0_lS8_lS7_l,comdat
.Lfunc_end30:
	.size	_ZN9rocsolver6v33100L22larf_left_kernel_smallILi64E19rocblas_complex_numIfElPKPS3_EEvT1_S7_T2_lS7_lPKT0_lS8_lS7_l, .Lfunc_end30-_ZN9rocsolver6v33100L22larf_left_kernel_smallILi64E19rocblas_complex_numIfElPKPS3_EEvT1_S7_T2_lS7_lPKT0_lS8_lS7_l
                                        ; -- End function
	.set _ZN9rocsolver6v33100L22larf_left_kernel_smallILi64E19rocblas_complex_numIfElPKPS3_EEvT1_S7_T2_lS7_lPKT0_lS8_lS7_l.num_vgpr, 48
	.set _ZN9rocsolver6v33100L22larf_left_kernel_smallILi64E19rocblas_complex_numIfElPKPS3_EEvT1_S7_T2_lS7_lPKT0_lS8_lS7_l.num_agpr, 0
	.set _ZN9rocsolver6v33100L22larf_left_kernel_smallILi64E19rocblas_complex_numIfElPKPS3_EEvT1_S7_T2_lS7_lPKT0_lS8_lS7_l.numbered_sgpr, 28
	.set _ZN9rocsolver6v33100L22larf_left_kernel_smallILi64E19rocblas_complex_numIfElPKPS3_EEvT1_S7_T2_lS7_lPKT0_lS8_lS7_l.num_named_barrier, 0
	.set _ZN9rocsolver6v33100L22larf_left_kernel_smallILi64E19rocblas_complex_numIfElPKPS3_EEvT1_S7_T2_lS7_lPKT0_lS8_lS7_l.private_seg_size, 0
	.set _ZN9rocsolver6v33100L22larf_left_kernel_smallILi64E19rocblas_complex_numIfElPKPS3_EEvT1_S7_T2_lS7_lPKT0_lS8_lS7_l.uses_vcc, 1
	.set _ZN9rocsolver6v33100L22larf_left_kernel_smallILi64E19rocblas_complex_numIfElPKPS3_EEvT1_S7_T2_lS7_lPKT0_lS8_lS7_l.uses_flat_scratch, 1
	.set _ZN9rocsolver6v33100L22larf_left_kernel_smallILi64E19rocblas_complex_numIfElPKPS3_EEvT1_S7_T2_lS7_lPKT0_lS8_lS7_l.has_dyn_sized_stack, 0
	.set _ZN9rocsolver6v33100L22larf_left_kernel_smallILi64E19rocblas_complex_numIfElPKPS3_EEvT1_S7_T2_lS7_lPKT0_lS8_lS7_l.has_recursion, 0
	.set _ZN9rocsolver6v33100L22larf_left_kernel_smallILi64E19rocblas_complex_numIfElPKPS3_EEvT1_S7_T2_lS7_lPKT0_lS8_lS7_l.has_indirect_call, 0
	.section	.AMDGPU.csdata,"",@progbits
; Kernel info:
; codeLenInByte = 1928
; TotalNumSgprs: 30
; NumVgprs: 48
; ScratchSize: 0
; MemoryBound: 0
; FloatMode: 240
; IeeeMode: 1
; LDSByteSize: 16896 bytes/workgroup (compile time only)
; SGPRBlocks: 0
; VGPRBlocks: 7
; NumSGPRsForWavesPerEU: 30
; NumVGPRsForWavesPerEU: 113
; NamedBarCnt: 0
; Occupancy: 8
; WaveLimiterHint : 1
; COMPUTE_PGM_RSRC2:SCRATCH_EN: 0
; COMPUTE_PGM_RSRC2:USER_SGPR: 2
; COMPUTE_PGM_RSRC2:TRAP_HANDLER: 0
; COMPUTE_PGM_RSRC2:TGID_X_EN: 1
; COMPUTE_PGM_RSRC2:TGID_Y_EN: 1
; COMPUTE_PGM_RSRC2:TGID_Z_EN: 0
; COMPUTE_PGM_RSRC2:TIDIG_COMP_CNT: 0
	.section	.text._ZN9rocsolver6v33100L22larf_left_kernel_smallILi128E19rocblas_complex_numIfElPKPS3_EEvT1_S7_T2_lS7_lPKT0_lS8_lS7_l,"axG",@progbits,_ZN9rocsolver6v33100L22larf_left_kernel_smallILi128E19rocblas_complex_numIfElPKPS3_EEvT1_S7_T2_lS7_lPKT0_lS8_lS7_l,comdat
	.globl	_ZN9rocsolver6v33100L22larf_left_kernel_smallILi128E19rocblas_complex_numIfElPKPS3_EEvT1_S7_T2_lS7_lPKT0_lS8_lS7_l ; -- Begin function _ZN9rocsolver6v33100L22larf_left_kernel_smallILi128E19rocblas_complex_numIfElPKPS3_EEvT1_S7_T2_lS7_lPKT0_lS8_lS7_l
	.p2align	8
	.type	_ZN9rocsolver6v33100L22larf_left_kernel_smallILi128E19rocblas_complex_numIfElPKPS3_EEvT1_S7_T2_lS7_lPKT0_lS8_lS7_l,@function
_ZN9rocsolver6v33100L22larf_left_kernel_smallILi128E19rocblas_complex_numIfElPKPS3_EEvT1_S7_T2_lS7_lPKT0_lS8_lS7_l: ; @_ZN9rocsolver6v33100L22larf_left_kernel_smallILi128E19rocblas_complex_numIfElPKPS3_EEvT1_S7_T2_lS7_lPKT0_lS8_lS7_l
; %bb.0:
	s_clause 0x3
	s_load_b64 s[6:7], s[0:1], 0x20
	s_load_b256 s[8:15], s[0:1], 0x0
	s_load_b256 s[16:23], s[0:1], 0x30
	s_load_b64 s[24:25], s[0:1], 0x50
	s_wait_xcnt 0x0
	s_bfe_u32 s0, ttmp6, 0x4000c
	s_and_b32 s2, ttmp6, 15
	s_add_co_i32 s0, s0, 1
	s_getreg_b32 s1, hwreg(HW_REG_IB_STS2, 6, 4)
	s_mul_i32 s0, ttmp9, s0
	s_mov_b32 s3, 0
	s_add_co_i32 s2, s2, s0
	s_cmp_eq_u32 s1, 0
	s_mov_b64 s[26:27], 0
	s_cselect_b32 s2, ttmp9, s2
	s_wait_kmcnt 0x0
	v_cmp_gt_i64_e64 s4, s[6:7], 0
	s_and_b32 vcc_lo, exec_lo, s4
	s_cbranch_vccnz .LBB31_2
; %bb.1:
	s_sub_nc_u64 s[4:5], 1, s[8:9]
	s_delay_alu instid0(SALU_CYCLE_1)
	s_mul_u64 s[26:27], s[6:7], s[4:5]
.LBB31_2:
	s_load_b64 s[4:5], s[20:21], s2 offset:0x0 scale_offset
	v_dual_mov_b32 v1, 0 :: v_dual_lshlrev_b32 v34, 3, v0
	s_delay_alu instid0(VALU_DEP_1)
	v_cmp_gt_i64_e64 s0, s[8:9], v[0:1]
	s_wait_xcnt 0x0
	s_and_saveexec_b32 s20, s0
	s_cbranch_execz .LBB31_5
; %bb.3:
	v_mul_u64_e32 v[2:3], s[6:7], v[0:1]
	s_load_b64 s[12:13], s[12:13], s2 offset:0x0 scale_offset
	s_lshl_b64 s[14:15], s[14:15], 3
	s_lshl_b64 s[26:27], s[26:27], 3
	v_mov_b64_e32 v[4:5], v[0:1]
	v_lshlrev_b32_e32 v6, 3, v0
	s_lshl_b64 s[6:7], s[6:7], 10
	s_wait_kmcnt 0x0
	s_add_nc_u64 s[12:13], s[12:13], s[14:15]
	s_delay_alu instid0(SALU_CYCLE_1)
	s_add_nc_u64 s[12:13], s[12:13], s[26:27]
	s_delay_alu instid0(VALU_DEP_3) | instid1(SALU_CYCLE_1)
	v_lshl_add_u64 v[2:3], v[2:3], 3, s[12:13]
	s_mov_b32 s12, 0
.LBB31_4:                               ; =>This Inner Loop Header: Depth=1
	flat_load_b64 v[8:9], v[2:3]
	v_add_nc_u64_e32 v[4:5], 0x80, v[4:5]
	s_wait_xcnt 0x0
	v_add_nc_u64_e32 v[2:3], s[6:7], v[2:3]
	s_delay_alu instid0(VALU_DEP_2)
	v_cmp_le_i64_e32 vcc_lo, s[8:9], v[4:5]
	s_or_b32 s12, vcc_lo, s12
	s_wait_loadcnt_dscnt 0x0
	ds_store_b64 v6, v[8:9]
	v_add_nc_u32_e32 v6, 0x400, v6
	s_and_not1_b32 exec_lo, exec_lo, s12
	s_cbranch_execnz .LBB31_4
.LBB31_5:
	s_or_b32 exec_lo, exec_lo, s20
	s_bfe_u32 s6, ttmp6, 0x40010
	s_bfe_u32 s7, ttmp6, 0x40004
	s_add_co_i32 s6, s6, 1
	s_wait_dscnt 0x0
	s_mul_i32 s6, ttmp7, s6
	s_barrier_signal -1
	s_add_co_i32 s6, s7, s6
	s_cmp_eq_u32 s1, 0
	s_mov_b32 s7, 0
	s_cselect_b32 s6, ttmp7, s6
	s_barrier_wait -1
	v_cmp_le_i64_e64 s1, s[10:11], s[6:7]
	s_and_b32 vcc_lo, exec_lo, s1
	s_cbranch_vccnz .LBB31_34
; %bb.6:
	v_mov_b32_e32 v3, -1
	v_not_b32_e32 v2, v0
	s_mul_u64 s[12:13], s[18:19], s[2:3]
	v_lshrrev_b32_e32 v26, 2, v0
	s_mul_u64 s[14:15], s[24:25], s[6:7]
	s_lshl_b64 s[12:13], s[12:13], 3
	v_add_nc_u64_e32 v[6:7], s[8:9], v[2:3]
	v_mov_b32_e32 v3, 0
	s_add_nc_u64 s[20:21], s[14:15], s[22:23]
	s_cmp_gt_i32 s8, 1
	s_add_nc_u64 s[12:13], s[16:17], s[12:13]
	v_add_nc_u64_e32 v[18:19], s[20:21], v[0:1]
	s_cselect_b32 s20, -1, 0
	v_lshrrev_b64 v[8:9], 7, v[6:7]
	s_lshl_b64 s[14:15], s[14:15], 3
	s_lshl_b64 s[16:17], s[22:23], 3
	v_lshlrev_b64_e32 v[14:15], 3, v[6:7]
	s_add_nc_u64 s[14:15], s[14:15], s[16:17]
	s_mov_b64 s[18:19], 0x1fffffffffffffff
	s_wait_kmcnt 0x0
	s_add_nc_u64 s[14:15], s[4:5], s[14:15]
	v_add_nc_u64_e32 v[8:9], 1, v[8:9]
	v_dual_lshlrev_b32 v10, 3, v0 :: v_dual_bitop2_b32 v2, 31, v0 bitop3:0x40
	v_mbcnt_lo_u32_b32 v35, -1, 0
	v_cmp_lt_u64_e32 vcc_lo, s[18:19], v[6:7]
	v_lshl_add_u64 v[18:19], v[18:19], 3, s[4:5]
	v_dual_mov_b32 v11, v3 :: v_dual_bitop2_b32 v12, -2, v8 bitop3:0x40
	v_mov_b32_e32 v13, v9
	v_cmp_gt_u64_e64 s21, 0x180, v[6:7]
	v_cmp_lt_u64_e64 s4, 0x17f, v[6:7]
	s_delay_alu instid0(VALU_DEP_4)
	v_add_nc_u64_e32 v[22:23], s[14:15], v[10:11]
	v_cmp_gt_i32_e64 s1, s8, v0
	v_lshlrev_b64_e32 v[16:17], 7, v[12:13]
	v_cmp_ne_u64_e64 s5, v[8:9], v[12:13]
	v_cmp_eq_u32_e64 s2, 0, v0
	v_or_b32_e32 v4, 0x80, v0
	v_cmp_eq_u32_e64 s3, 0, v2
	v_mov_b32_e32 v5, v3
	v_add_nc_u64_e32 v[20:21], 4, v[22:23]
	v_or_b32_e32 v16, v16, v0
	v_add_nc_u64_e32 v[22:23], 0x404, v[22:23]
	v_and_b32_e32 v14, 0xfffffc00, v14
	v_mov_b32_e32 v2, v0
	v_lshl_or_b32 v36, v35, 2, 64
	v_lshlrev_b64_e32 v[24:25], 3, v[16:17]
	v_or_b32_e32 v37, 0x4000, v26
	v_mov_b32_e32 v38, 0x4008
	s_lshl_b64 s[16:17], s[24:25], 9
	s_mov_b64 s[18:19], 0
	s_xor_b32 s22, vcc_lo, -1
	s_branch .LBB31_8
.LBB31_7:                               ;   in Loop: Header=BB31_8 Depth=1
	s_or_b32 exec_lo, exec_lo, s23
	s_add_nc_u64 s[6:7], s[6:7], 64
	v_add_nc_u64_e32 v[20:21], s[16:17], v[20:21]
	v_cmp_ge_i64_e64 s23, s[6:7], s[10:11]
	v_add_nc_u64_e32 v[22:23], s[16:17], v[22:23]
	s_add_nc_u64 s[18:19], s[18:19], 1
	s_add_nc_u64 s[14:15], s[14:15], s[16:17]
	s_and_b32 vcc_lo, exec_lo, s23
	s_cbranch_vccnz .LBB31_34
.LBB31_8:                               ; =>This Loop Header: Depth=1
                                        ;     Child Loop BB31_10 Depth 2
                                        ;     Child Loop BB31_26 Depth 2
	;; [unrolled: 1-line block ×3, first 2 shown]
	v_mov_b64_e32 v[6:7], 0
	s_and_saveexec_b32 s23, s1
	s_cbranch_execz .LBB31_12
; %bb.9:                                ;   in Loop: Header=BB31_8 Depth=1
	v_dual_mov_b32 v7, 0 :: v_dual_mov_b32 v26, v34
	v_mov_b64_e32 v[8:9], v[20:21]
	v_mov_b32_e32 v27, v0
	s_mov_b32 s24, 0
	s_delay_alu instid0(VALU_DEP_3)
	v_mov_b32_e32 v6, v7
.LBB31_10:                              ;   Parent Loop BB31_8 Depth=1
                                        ; =>  This Inner Loop Header: Depth=2
	flat_load_b64 v[28:29], v[8:9] offset:-4
	ds_load_b64 v[30:31], v26
	s_wait_xcnt 0x0
	v_add_nc_u64_e32 v[8:9], 0x400, v[8:9]
	v_add_nc_u32_e32 v26, 0x400, v26
	s_wait_loadcnt_dscnt 0x0
	v_dual_mul_f32 v32, v29, v31 :: v_dual_mul_f32 v29, v29, v30
	s_delay_alu instid0(VALU_DEP_1) | instskip(NEXT) | instid1(VALU_DEP_2)
	v_dual_fmac_f32 v32, v28, v30 :: v_dual_add_nc_u32 v27, 0x80, v27
	v_fma_f32 v33, v28, v31, -v29
	s_delay_alu instid0(VALU_DEP_2) | instskip(NEXT) | instid1(VALU_DEP_2)
	v_cmp_le_i32_e32 vcc_lo, s8, v27
	v_pk_add_f32 v[6:7], v[6:7], v[32:33]
	s_or_b32 s24, vcc_lo, s24
	s_delay_alu instid0(SALU_CYCLE_1)
	s_and_not1_b32 exec_lo, exec_lo, s24
	s_cbranch_execnz .LBB31_10
; %bb.11:                               ;   in Loop: Header=BB31_8 Depth=1
	s_or_b32 exec_lo, exec_lo, s24
.LBB31_12:                              ;   in Loop: Header=BB31_8 Depth=1
	s_delay_alu instid0(SALU_CYCLE_1) | instskip(NEXT) | instid1(SALU_CYCLE_1)
	s_or_b32 exec_lo, exec_lo, s23
	s_and_b32 vcc_lo, exec_lo, s20
	s_cbranch_vccz .LBB31_19
; %bb.13:                               ;   in Loop: Header=BB31_8 Depth=1
	v_cmp_ne_u32_e32 vcc_lo, 31, v35
	v_add_co_ci_u32_e64 v8, null, 0, v35, vcc_lo
	v_cmp_gt_u32_e32 vcc_lo, 30, v35
	s_delay_alu instid0(VALU_DEP_2)
	v_lshlrev_b32_e32 v9, 2, v8
	v_cndmask_b32_e64 v26, 0, 2, vcc_lo
	v_cmp_gt_u32_e32 vcc_lo, 28, v35
	ds_bpermute_b32 v8, v9, v6
	ds_bpermute_b32 v9, v9, v7
	v_add_lshl_u32 v27, v26, v35, 2
	v_cndmask_b32_e64 v28, 0, 4, vcc_lo
	v_cmp_gt_u32_e32 vcc_lo, 24, v35
	s_delay_alu instid0(VALU_DEP_2)
	v_add_lshl_u32 v28, v28, v35, 2
	s_wait_dscnt 0x0
	v_pk_add_f32 v[8:9], v[6:7], v[8:9]
	ds_bpermute_b32 v26, v27, v8
	ds_bpermute_b32 v27, v27, v9
	s_wait_dscnt 0x0
	v_pk_add_f32 v[8:9], v[8:9], v[26:27]
	ds_bpermute_b32 v26, v28, v8
	ds_bpermute_b32 v27, v28, v9
	v_cndmask_b32_e64 v28, 0, 8, vcc_lo
	s_delay_alu instid0(VALU_DEP_1)
	v_add_lshl_u32 v28, v28, v35, 2
	s_wait_dscnt 0x0
	v_pk_add_f32 v[8:9], v[8:9], v[26:27]
	ds_bpermute_b32 v26, v28, v8
	ds_bpermute_b32 v27, v28, v9
	s_wait_dscnt 0x0
	v_pk_add_f32 v[8:9], v[8:9], v[26:27]
	ds_bpermute_b32 v26, v36, v8
	ds_bpermute_b32 v27, v36, v9
	s_wait_dscnt 0x0
	v_pk_add_f32 v[8:9], v[8:9], v[26:27]
	s_and_saveexec_b32 s23, s3
; %bb.14:                               ;   in Loop: Header=BB31_8 Depth=1
	ds_store_2addr_b32 v37, v8, v9 offset1:1
; %bb.15:                               ;   in Loop: Header=BB31_8 Depth=1
	s_or_b32 exec_lo, exec_lo, s23
	s_mov_b32 s24, 0
	s_mov_b32 s23, 0
	s_wait_dscnt 0x0
	s_barrier_signal -1
	s_barrier_wait -1
                                        ; implicit-def: $vgpr26_vgpr27
	s_and_saveexec_b32 s25, s2
	s_delay_alu instid0(SALU_CYCLE_1)
	s_xor_b32 s25, exec_lo, s25
	s_cbranch_execz .LBB31_17
; %bb.16:                               ;   in Loop: Header=BB31_8 Depth=1
	ds_load_2addr_b64 v[26:29], v38 offset1:1
	ds_load_b64 v[30:31], v3 offset:16408
	s_mov_b32 s23, exec_lo
	s_wait_dscnt 0x1
	v_pk_add_f32 v[8:9], v[8:9], v[26:27]
	s_delay_alu instid0(VALU_DEP_1) | instskip(SKIP_1) | instid1(VALU_DEP_1)
	v_pk_add_f32 v[8:9], v[8:9], v[28:29]
	s_wait_dscnt 0x0
	v_pk_add_f32 v[26:27], v[8:9], v[30:31]
.LBB31_17:                              ;   in Loop: Header=BB31_8 Depth=1
	s_or_b32 exec_lo, exec_lo, s25
	s_delay_alu instid0(SALU_CYCLE_1)
	s_and_b32 vcc_lo, exec_lo, s24
	s_cbranch_vccnz .LBB31_20
.LBB31_18:                              ;   in Loop: Header=BB31_8 Depth=1
	s_delay_alu instid0(VALU_DEP_1)
	v_mov_b64_e32 v[6:7], v[26:27]
	s_and_saveexec_b32 s24, s23
	s_cbranch_execnz .LBB31_21
	s_branch .LBB31_22
.LBB31_19:                              ;   in Loop: Header=BB31_8 Depth=1
	s_mov_b32 s23, 0
                                        ; implicit-def: $vgpr26_vgpr27
	s_cbranch_execz .LBB31_18
.LBB31_20:                              ;   in Loop: Header=BB31_8 Depth=1
	s_and_not1_b32 s23, s23, exec_lo
	s_and_b32 s24, s2, exec_lo
	s_delay_alu instid0(SALU_CYCLE_1) | instskip(NEXT) | instid1(SALU_CYCLE_1)
	s_or_b32 s23, s23, s24
	s_and_saveexec_b32 s24, s23
.LBB31_21:                              ;   in Loop: Header=BB31_8 Depth=1
	ds_store_b64 v3, v[6:7] offset:16384
.LBB31_22:                              ;   in Loop: Header=BB31_8 Depth=1
	s_or_b32 exec_lo, exec_lo, s24
	s_wait_dscnt 0x0
	s_barrier_signal -1
	s_barrier_wait -1
	s_and_saveexec_b32 s23, s0
	s_cbranch_execz .LBB31_7
; %bb.23:                               ;   in Loop: Header=BB31_8 Depth=1
	global_load_b64 v[8:9], v3, s[12:13]
	ds_load_b64 v[30:31], v3 offset:16384
	s_mov_b32 s25, s21
	s_wait_loadcnt_dscnt 0x0
	v_dual_mul_f32 v6, v9, v31 :: v_dual_mul_f32 v7, v9, v30
	v_xor_b32_e32 v9, 0x80000000, v8
	s_delay_alu instid0(VALU_DEP_2) | instskip(NEXT) | instid1(VALU_DEP_3)
	v_xor_b32_e32 v26, 0x80000000, v6
	v_xor_b32_e32 v28, 0x80000000, v7
	v_mov_b64_e32 v[6:7], v[0:1]
	s_delay_alu instid0(VALU_DEP_2)
	v_dual_fmac_f32 v26, v30, v9 :: v_dual_fmac_f32 v28, v8, v31
	v_mov_b64_e32 v[8:9], v[10:11]
	s_wait_xcnt 0x0
	s_and_saveexec_b32 s24, s4
	s_cbranch_execz .LBB31_31
; %bb.24:                               ;   in Loop: Header=BB31_8 Depth=1
	v_mad_nc_u64_u32 v[6:7], s16, s18, v[18:19]
	s_mul_i32 s25, s17, s18
	s_mul_i32 s26, s16, s19
	s_delay_alu instid0(VALU_DEP_1) | instid1(SALU_CYCLE_1)
	v_add3_u32 v7, s26, s25, v7
	s_mov_b32 s26, -1
	s_delay_alu instid0(VALU_DEP_1) | instskip(NEXT) | instid1(VALU_DEP_1)
	v_add_nc_u64_e32 v[8:9], v[6:7], v[14:15]
	v_cmp_ge_u64_e32 vcc_lo, v[8:9], v[6:7]
	v_mov_b64_e32 v[6:7], v[0:1]
	v_mov_b64_e32 v[8:9], v[10:11]
	s_and_b32 s27, vcc_lo, s22
	s_delay_alu instid0(SALU_CYCLE_1)
	s_and_saveexec_b32 s25, s27
	s_cbranch_execz .LBB31_30
; %bb.25:                               ;   in Loop: Header=BB31_8 Depth=1
	v_mov_b64_e32 v[8:9], v[4:5]
	v_mov_b64_e32 v[30:31], v[12:13]
	;; [unrolled: 1-line block ×4, first 2 shown]
	v_dual_mov_b32 v27, v26 :: v_dual_mov_b32 v29, v28
	s_mov_b32 s26, 0
.LBB31_26:                              ;   Parent Loop BB31_8 Depth=1
                                        ; =>  This Inner Loop Header: Depth=2
	s_clause 0x1
	flat_load_b64 v[40:41], v[32:33] offset:-1028
	flat_load_b64 v[42:43], v[32:33] offset:-4
	v_dual_lshlrev_b32 v39, 3, v8 :: v_dual_lshlrev_b32 v46, 3, v6
	v_add_nc_u64_e32 v[30:31], -2, v[30:31]
	v_add_nc_u64_e32 v[8:9], 0x100, v[8:9]
	ds_load_b64 v[44:45], v39
	ds_load_b64 v[46:47], v46
	v_add_nc_u64_e32 v[6:7], 0x100, v[6:7]
	v_cmp_eq_u64_e32 vcc_lo, 0, v[30:31]
	s_or_b32 s26, vcc_lo, s26
	s_wait_dscnt 0x0
	v_dual_mov_b32 v49, v44 :: v_dual_mov_b32 v44, v47
	v_mov_b32_e32 v48, v46
	s_delay_alu instid0(VALU_DEP_2) | instskip(SKIP_1) | instid1(VALU_DEP_2)
	v_pk_mul_f32 v[46:47], v[28:29], v[44:45]
	v_pk_mul_f32 v[44:45], v[26:27], v[44:45]
	v_pk_fma_f32 v[46:47], v[26:27], v[48:49], v[46:47] neg_lo:[0,0,1] neg_hi:[0,0,1]
	s_delay_alu instid0(VALU_DEP_2) | instskip(SKIP_3) | instid1(VALU_DEP_2)
	v_pk_fma_f32 v[44:45], v[28:29], v[48:49], v[44:45]
	s_wait_loadcnt 0x0
	v_dual_mov_b32 v48, v40 :: v_dual_mov_b32 v49, v42
	v_mov_b32_e32 v42, v41
	v_pk_add_f32 v[40:41], v[48:49], v[46:47]
	s_delay_alu instid0(VALU_DEP_2) | instskip(NEXT) | instid1(VALU_DEP_1)
	v_pk_add_f32 v[42:43], v[44:45], v[42:43]
	v_dual_mov_b32 v44, v40 :: v_dual_mov_b32 v45, v42
	s_delay_alu instid0(VALU_DEP_3)
	v_mov_b32_e32 v42, v41
	s_clause 0x1
	flat_store_b64 v[32:33], v[44:45] offset:-1028
	flat_store_b64 v[32:33], v[42:43] offset:-4
	s_wait_xcnt 0x0
	v_add_nc_u64_e32 v[32:33], 0x800, v[32:33]
	s_and_not1_b32 exec_lo, exec_lo, s26
	s_cbranch_execnz .LBB31_26
; %bb.27:                               ;   in Loop: Header=BB31_8 Depth=1
	s_or_b32 exec_lo, exec_lo, s26
	s_mov_b32 s26, 0
	s_and_saveexec_b32 s27, s5
; %bb.28:                               ;   in Loop: Header=BB31_8 Depth=1
	s_mov_b32 s26, exec_lo
; %bb.29:                               ;   in Loop: Header=BB31_8 Depth=1
	s_or_b32 exec_lo, exec_lo, s27
	v_mov_b64_e32 v[6:7], v[16:17]
	v_mov_b64_e32 v[8:9], v[24:25]
	s_or_not1_b32 s26, s26, exec_lo
.LBB31_30:                              ;   in Loop: Header=BB31_8 Depth=1
	s_or_b32 exec_lo, exec_lo, s25
	s_delay_alu instid0(SALU_CYCLE_1) | instskip(SKIP_1) | instid1(SALU_CYCLE_1)
	s_and_not1_b32 s25, s21, exec_lo
	s_and_b32 s26, s26, exec_lo
	s_or_b32 s25, s25, s26
.LBB31_31:                              ;   in Loop: Header=BB31_8 Depth=1
	s_or_b32 exec_lo, exec_lo, s24
	s_delay_alu instid0(SALU_CYCLE_1)
	s_and_b32 exec_lo, exec_lo, s25
	s_cbranch_execz .LBB31_7
; %bb.32:                               ;   in Loop: Header=BB31_8 Depth=1
	v_add_nc_u64_e32 v[8:9], s[14:15], v[8:9]
	v_dual_mov_b32 v29, v28 :: v_dual_mov_b32 v27, v26
	v_lshlrev_b32_e32 v30, 3, v6
	s_mov_b32 s24, 0
.LBB31_33:                              ;   Parent Loop BB31_8 Depth=1
                                        ; =>  This Inner Loop Header: Depth=2
	flat_load_b64 v[32:33], v[8:9]
	ds_load_b64 v[40:41], v30
	v_add_nc_u64_e32 v[6:7], 0x80, v[6:7]
	v_add_nc_u32_e32 v30, 0x400, v30
	s_delay_alu instid0(VALU_DEP_2) | instskip(SKIP_3) | instid1(VALU_DEP_1)
	v_cmp_le_i64_e32 vcc_lo, s[8:9], v[6:7]
	s_or_b32 s24, vcc_lo, s24
	s_wait_dscnt 0x0
	v_pk_mul_f32 v[42:43], v[28:29], v[40:41] op_sel:[0,1] op_sel_hi:[1,0]
	v_pk_fma_f32 v[44:45], v[26:27], v[40:41], v[42:43]
	v_pk_fma_f32 v[40:41], v[26:27], v[40:41], v[42:43] neg_lo:[0,0,1] neg_hi:[0,0,1]
	s_delay_alu instid0(VALU_DEP_2) | instskip(SKIP_1) | instid1(VALU_DEP_1)
	v_mov_b32_e32 v41, v45
	s_wait_loadcnt 0x0
	v_pk_add_f32 v[32:33], v[32:33], v[40:41]
	flat_store_b64 v[8:9], v[32:33]
	s_wait_xcnt 0x0
	v_add_nc_u64_e32 v[8:9], 0x400, v[8:9]
	s_and_not1_b32 exec_lo, exec_lo, s24
	s_cbranch_execnz .LBB31_33
	s_branch .LBB31_7
.LBB31_34:
	s_endpgm
	.section	.rodata,"a",@progbits
	.p2align	6, 0x0
	.amdhsa_kernel _ZN9rocsolver6v33100L22larf_left_kernel_smallILi128E19rocblas_complex_numIfElPKPS3_EEvT1_S7_T2_lS7_lPKT0_lS8_lS7_l
		.amdhsa_group_segment_fixed_size 17408
		.amdhsa_private_segment_fixed_size 0
		.amdhsa_kernarg_size 96
		.amdhsa_user_sgpr_count 2
		.amdhsa_user_sgpr_dispatch_ptr 0
		.amdhsa_user_sgpr_queue_ptr 0
		.amdhsa_user_sgpr_kernarg_segment_ptr 1
		.amdhsa_user_sgpr_dispatch_id 0
		.amdhsa_user_sgpr_kernarg_preload_length 0
		.amdhsa_user_sgpr_kernarg_preload_offset 0
		.amdhsa_user_sgpr_private_segment_size 0
		.amdhsa_wavefront_size32 1
		.amdhsa_uses_dynamic_stack 0
		.amdhsa_enable_private_segment 0
		.amdhsa_system_sgpr_workgroup_id_x 1
		.amdhsa_system_sgpr_workgroup_id_y 1
		.amdhsa_system_sgpr_workgroup_id_z 0
		.amdhsa_system_sgpr_workgroup_info 0
		.amdhsa_system_vgpr_workitem_id 0
		.amdhsa_next_free_vgpr 50
		.amdhsa_next_free_sgpr 28
		.amdhsa_named_barrier_count 0
		.amdhsa_reserve_vcc 1
		.amdhsa_float_round_mode_32 0
		.amdhsa_float_round_mode_16_64 0
		.amdhsa_float_denorm_mode_32 3
		.amdhsa_float_denorm_mode_16_64 3
		.amdhsa_fp16_overflow 0
		.amdhsa_memory_ordered 1
		.amdhsa_forward_progress 1
		.amdhsa_inst_pref_size 16
		.amdhsa_round_robin_scheduling 0
		.amdhsa_exception_fp_ieee_invalid_op 0
		.amdhsa_exception_fp_denorm_src 0
		.amdhsa_exception_fp_ieee_div_zero 0
		.amdhsa_exception_fp_ieee_overflow 0
		.amdhsa_exception_fp_ieee_underflow 0
		.amdhsa_exception_fp_ieee_inexact 0
		.amdhsa_exception_int_div_zero 0
	.end_amdhsa_kernel
	.section	.text._ZN9rocsolver6v33100L22larf_left_kernel_smallILi128E19rocblas_complex_numIfElPKPS3_EEvT1_S7_T2_lS7_lPKT0_lS8_lS7_l,"axG",@progbits,_ZN9rocsolver6v33100L22larf_left_kernel_smallILi128E19rocblas_complex_numIfElPKPS3_EEvT1_S7_T2_lS7_lPKT0_lS8_lS7_l,comdat
.Lfunc_end31:
	.size	_ZN9rocsolver6v33100L22larf_left_kernel_smallILi128E19rocblas_complex_numIfElPKPS3_EEvT1_S7_T2_lS7_lPKT0_lS8_lS7_l, .Lfunc_end31-_ZN9rocsolver6v33100L22larf_left_kernel_smallILi128E19rocblas_complex_numIfElPKPS3_EEvT1_S7_T2_lS7_lPKT0_lS8_lS7_l
                                        ; -- End function
	.set _ZN9rocsolver6v33100L22larf_left_kernel_smallILi128E19rocblas_complex_numIfElPKPS3_EEvT1_S7_T2_lS7_lPKT0_lS8_lS7_l.num_vgpr, 50
	.set _ZN9rocsolver6v33100L22larf_left_kernel_smallILi128E19rocblas_complex_numIfElPKPS3_EEvT1_S7_T2_lS7_lPKT0_lS8_lS7_l.num_agpr, 0
	.set _ZN9rocsolver6v33100L22larf_left_kernel_smallILi128E19rocblas_complex_numIfElPKPS3_EEvT1_S7_T2_lS7_lPKT0_lS8_lS7_l.numbered_sgpr, 28
	.set _ZN9rocsolver6v33100L22larf_left_kernel_smallILi128E19rocblas_complex_numIfElPKPS3_EEvT1_S7_T2_lS7_lPKT0_lS8_lS7_l.num_named_barrier, 0
	.set _ZN9rocsolver6v33100L22larf_left_kernel_smallILi128E19rocblas_complex_numIfElPKPS3_EEvT1_S7_T2_lS7_lPKT0_lS8_lS7_l.private_seg_size, 0
	.set _ZN9rocsolver6v33100L22larf_left_kernel_smallILi128E19rocblas_complex_numIfElPKPS3_EEvT1_S7_T2_lS7_lPKT0_lS8_lS7_l.uses_vcc, 1
	.set _ZN9rocsolver6v33100L22larf_left_kernel_smallILi128E19rocblas_complex_numIfElPKPS3_EEvT1_S7_T2_lS7_lPKT0_lS8_lS7_l.uses_flat_scratch, 1
	.set _ZN9rocsolver6v33100L22larf_left_kernel_smallILi128E19rocblas_complex_numIfElPKPS3_EEvT1_S7_T2_lS7_lPKT0_lS8_lS7_l.has_dyn_sized_stack, 0
	.set _ZN9rocsolver6v33100L22larf_left_kernel_smallILi128E19rocblas_complex_numIfElPKPS3_EEvT1_S7_T2_lS7_lPKT0_lS8_lS7_l.has_recursion, 0
	.set _ZN9rocsolver6v33100L22larf_left_kernel_smallILi128E19rocblas_complex_numIfElPKPS3_EEvT1_S7_T2_lS7_lPKT0_lS8_lS7_l.has_indirect_call, 0
	.section	.AMDGPU.csdata,"",@progbits
; Kernel info:
; codeLenInByte = 1968
; TotalNumSgprs: 30
; NumVgprs: 50
; ScratchSize: 0
; MemoryBound: 0
; FloatMode: 240
; IeeeMode: 1
; LDSByteSize: 17408 bytes/workgroup (compile time only)
; SGPRBlocks: 0
; VGPRBlocks: 3
; NumSGPRsForWavesPerEU: 30
; NumVGPRsForWavesPerEU: 50
; NamedBarCnt: 0
; Occupancy: 16
; WaveLimiterHint : 1
; COMPUTE_PGM_RSRC2:SCRATCH_EN: 0
; COMPUTE_PGM_RSRC2:USER_SGPR: 2
; COMPUTE_PGM_RSRC2:TRAP_HANDLER: 0
; COMPUTE_PGM_RSRC2:TGID_X_EN: 1
; COMPUTE_PGM_RSRC2:TGID_Y_EN: 1
; COMPUTE_PGM_RSRC2:TGID_Z_EN: 0
; COMPUTE_PGM_RSRC2:TIDIG_COMP_CNT: 0
	.section	.text._ZN9rocsolver6v33100L22larf_left_kernel_smallILi256E19rocblas_complex_numIfElPKPS3_EEvT1_S7_T2_lS7_lPKT0_lS8_lS7_l,"axG",@progbits,_ZN9rocsolver6v33100L22larf_left_kernel_smallILi256E19rocblas_complex_numIfElPKPS3_EEvT1_S7_T2_lS7_lPKT0_lS8_lS7_l,comdat
	.globl	_ZN9rocsolver6v33100L22larf_left_kernel_smallILi256E19rocblas_complex_numIfElPKPS3_EEvT1_S7_T2_lS7_lPKT0_lS8_lS7_l ; -- Begin function _ZN9rocsolver6v33100L22larf_left_kernel_smallILi256E19rocblas_complex_numIfElPKPS3_EEvT1_S7_T2_lS7_lPKT0_lS8_lS7_l
	.p2align	8
	.type	_ZN9rocsolver6v33100L22larf_left_kernel_smallILi256E19rocblas_complex_numIfElPKPS3_EEvT1_S7_T2_lS7_lPKT0_lS8_lS7_l,@function
_ZN9rocsolver6v33100L22larf_left_kernel_smallILi256E19rocblas_complex_numIfElPKPS3_EEvT1_S7_T2_lS7_lPKT0_lS8_lS7_l: ; @_ZN9rocsolver6v33100L22larf_left_kernel_smallILi256E19rocblas_complex_numIfElPKPS3_EEvT1_S7_T2_lS7_lPKT0_lS8_lS7_l
; %bb.0:
	s_clause 0x3
	s_load_b64 s[6:7], s[0:1], 0x20
	s_load_b256 s[8:15], s[0:1], 0x0
	s_load_b256 s[16:23], s[0:1], 0x30
	s_load_b64 s[24:25], s[0:1], 0x50
	s_wait_xcnt 0x0
	s_bfe_u32 s0, ttmp6, 0x4000c
	s_and_b32 s2, ttmp6, 15
	s_add_co_i32 s0, s0, 1
	s_getreg_b32 s1, hwreg(HW_REG_IB_STS2, 6, 4)
	s_mul_i32 s0, ttmp9, s0
	s_mov_b32 s3, 0
	s_add_co_i32 s2, s2, s0
	s_cmp_eq_u32 s1, 0
	s_mov_b64 s[26:27], 0
	s_cselect_b32 s2, ttmp9, s2
	s_wait_kmcnt 0x0
	v_cmp_gt_i64_e64 s4, s[6:7], 0
	s_and_b32 vcc_lo, exec_lo, s4
	s_cbranch_vccnz .LBB32_2
; %bb.1:
	s_sub_nc_u64 s[4:5], 1, s[8:9]
	s_delay_alu instid0(SALU_CYCLE_1)
	s_mul_u64 s[26:27], s[6:7], s[4:5]
.LBB32_2:
	s_load_b64 s[4:5], s[20:21], s2 offset:0x0 scale_offset
	v_dual_mov_b32 v1, 0 :: v_dual_lshlrev_b32 v34, 3, v0
	s_delay_alu instid0(VALU_DEP_1)
	v_cmp_gt_i64_e64 s0, s[8:9], v[0:1]
	s_wait_xcnt 0x0
	s_and_saveexec_b32 s20, s0
	s_cbranch_execz .LBB32_5
; %bb.3:
	v_mul_u64_e32 v[2:3], s[6:7], v[0:1]
	s_load_b64 s[12:13], s[12:13], s2 offset:0x0 scale_offset
	s_lshl_b64 s[14:15], s[14:15], 3
	s_lshl_b64 s[26:27], s[26:27], 3
	v_mov_b64_e32 v[4:5], v[0:1]
	v_lshlrev_b32_e32 v6, 3, v0
	s_lshl_b64 s[6:7], s[6:7], 11
	s_wait_kmcnt 0x0
	s_add_nc_u64 s[12:13], s[12:13], s[14:15]
	s_delay_alu instid0(SALU_CYCLE_1)
	s_add_nc_u64 s[12:13], s[12:13], s[26:27]
	s_delay_alu instid0(VALU_DEP_3) | instid1(SALU_CYCLE_1)
	v_lshl_add_u64 v[2:3], v[2:3], 3, s[12:13]
	s_mov_b32 s12, 0
.LBB32_4:                               ; =>This Inner Loop Header: Depth=1
	flat_load_b64 v[8:9], v[2:3]
	v_add_nc_u64_e32 v[4:5], 0x100, v[4:5]
	s_wait_xcnt 0x0
	v_add_nc_u64_e32 v[2:3], s[6:7], v[2:3]
	s_delay_alu instid0(VALU_DEP_2)
	v_cmp_le_i64_e32 vcc_lo, s[8:9], v[4:5]
	s_or_b32 s12, vcc_lo, s12
	s_wait_loadcnt_dscnt 0x0
	ds_store_b64 v6, v[8:9]
	v_add_nc_u32_e32 v6, 0x800, v6
	s_and_not1_b32 exec_lo, exec_lo, s12
	s_cbranch_execnz .LBB32_4
.LBB32_5:
	s_or_b32 exec_lo, exec_lo, s20
	s_bfe_u32 s6, ttmp6, 0x40010
	s_bfe_u32 s7, ttmp6, 0x40004
	s_add_co_i32 s6, s6, 1
	s_wait_dscnt 0x0
	s_mul_i32 s6, ttmp7, s6
	s_barrier_signal -1
	s_add_co_i32 s6, s7, s6
	s_cmp_eq_u32 s1, 0
	s_mov_b32 s7, 0
	s_cselect_b32 s6, ttmp7, s6
	s_barrier_wait -1
	v_cmp_le_i64_e64 s1, s[10:11], s[6:7]
	s_and_b32 vcc_lo, exec_lo, s1
	s_cbranch_vccnz .LBB32_34
; %bb.6:
	v_mov_b32_e32 v3, -1
	v_not_b32_e32 v2, v0
	s_mul_u64 s[12:13], s[18:19], s[2:3]
	v_lshrrev_b32_e32 v24, 2, v0
	s_mul_u64 s[14:15], s[24:25], s[6:7]
	s_lshl_b64 s[12:13], s[12:13], 3
	v_add_nc_u64_e32 v[6:7], s[8:9], v[2:3]
	v_mov_b32_e32 v3, 0
	s_add_nc_u64 s[20:21], s[14:15], s[22:23]
	s_cmp_gt_i32 s8, 1
	s_add_nc_u64 s[12:13], s[16:17], s[12:13]
	v_add_nc_u64_e32 v[18:19], s[20:21], v[0:1]
	s_cselect_b32 s20, -1, 0
	v_lshrrev_b64 v[8:9], 8, v[6:7]
	s_lshl_b64 s[14:15], s[14:15], 3
	s_lshl_b64 s[16:17], s[22:23], 3
	v_lshlrev_b64_e32 v[14:15], 3, v[6:7]
	s_add_nc_u64 s[14:15], s[14:15], s[16:17]
	s_mov_b64 s[18:19], 0x1fffffffffffffff
	s_wait_kmcnt 0x0
	s_add_nc_u64 s[14:15], s[4:5], s[14:15]
	v_add_nc_u64_e32 v[8:9], 1, v[8:9]
	v_dual_lshlrev_b32 v10, 3, v0 :: v_dual_bitop2_b32 v2, 31, v0 bitop3:0x40
	v_mbcnt_lo_u32_b32 v35, -1, 0
	v_cmp_lt_u64_e32 vcc_lo, s[18:19], v[6:7]
	v_lshl_add_u64 v[18:19], v[18:19], 3, s[4:5]
	v_dual_mov_b32 v11, v3 :: v_dual_bitop2_b32 v12, -2, v8 bitop3:0x40
	v_mov_b32_e32 v13, v9
	v_cmp_gt_u64_e64 s21, 0x300, v[6:7]
	v_cmp_lt_u64_e64 s4, 0x2ff, v[6:7]
	s_delay_alu instid0(VALU_DEP_4)
	v_add_nc_u64_e32 v[20:21], s[14:15], v[10:11]
	v_or_b32_e32 v37, 0x4000, v24
	v_lshlrev_b64_e32 v[16:17], 8, v[12:13]
	v_cmp_ne_u64_e64 s5, v[8:9], v[12:13]
	v_cmp_gt_i32_e64 s1, s8, v0
	v_cmp_eq_u32_e64 s2, 0, v0
	v_or_b32_e32 v4, 0x100, v0
	v_mov_b32_e32 v5, v3
	v_add_nc_u64_e32 v[22:23], 0x804, v[20:21]
	v_or_b32_e32 v16, v16, v0
	v_cmp_eq_u32_e64 s3, 0, v2
	v_and_b32_e32 v14, 0xfffff800, v14
	v_dual_mov_b32 v2, v0 :: v_dual_mov_b32 v39, 0x4018
	s_delay_alu instid0(VALU_DEP_4)
	v_lshlrev_b64_e32 v[24:25], 3, v[16:17]
	v_lshl_or_b32 v36, v35, 2, 64
	v_mov_b32_e32 v38, 0x4008
	v_mov_b32_e32 v40, 0x4028
	s_lshl_b64 s[16:17], s[24:25], 9
	s_mov_b64 s[18:19], 0
	s_xor_b32 s22, vcc_lo, -1
	s_branch .LBB32_8
.LBB32_7:                               ;   in Loop: Header=BB32_8 Depth=1
	s_or_b32 exec_lo, exec_lo, s23
	s_add_nc_u64 s[6:7], s[6:7], 64
	v_add_nc_u64_e32 v[20:21], s[16:17], v[20:21]
	v_cmp_ge_i64_e64 s23, s[6:7], s[10:11]
	v_add_nc_u64_e32 v[22:23], s[16:17], v[22:23]
	s_add_nc_u64 s[18:19], s[18:19], 1
	s_add_nc_u64 s[14:15], s[14:15], s[16:17]
	s_and_b32 vcc_lo, exec_lo, s23
	s_cbranch_vccnz .LBB32_34
.LBB32_8:                               ; =>This Loop Header: Depth=1
                                        ;     Child Loop BB32_10 Depth 2
                                        ;     Child Loop BB32_26 Depth 2
	;; [unrolled: 1-line block ×3, first 2 shown]
	v_mov_b64_e32 v[6:7], 0
	s_and_saveexec_b32 s23, s1
	s_cbranch_execz .LBB32_12
; %bb.9:                                ;   in Loop: Header=BB32_8 Depth=1
	v_dual_mov_b32 v6, 0 :: v_dual_mov_b32 v26, v34
	v_mov_b64_e32 v[8:9], v[20:21]
	v_mov_b32_e32 v27, v0
	s_mov_b32 s24, 0
	s_delay_alu instid0(VALU_DEP_3)
	v_mov_b32_e32 v7, v6
.LBB32_10:                              ;   Parent Loop BB32_8 Depth=1
                                        ; =>  This Inner Loop Header: Depth=2
	flat_load_b64 v[28:29], v[8:9]
	ds_load_b64 v[30:31], v26
	s_wait_xcnt 0x0
	v_add_nc_u64_e32 v[8:9], 0x800, v[8:9]
	v_add_nc_u32_e32 v27, 0x100, v27
	v_add_nc_u32_e32 v26, 0x800, v26
	s_delay_alu instid0(VALU_DEP_2)
	v_cmp_le_i32_e32 vcc_lo, s8, v27
	s_or_b32 s24, vcc_lo, s24
	s_wait_dscnt 0x0
	v_mov_b32_e32 v42, v31
	s_wait_loadcnt 0x0
	v_pk_mul_f32 v[32:33], v[28:29], v[30:31] op_sel_hi:[1,0]
	s_delay_alu instid0(VALU_DEP_1) | instskip(NEXT) | instid1(VALU_DEP_3)
	v_pk_fma_f32 v[30:31], v[28:29], v[30:31], v[32:33] op_sel:[1,1,0] op_sel_hi:[0,1,1] neg_lo:[0,0,1] neg_hi:[0,0,1]
	v_pk_fma_f32 v[28:29], v[28:29], v[42:43], v[32:33] op_sel:[1,0,0] op_sel_hi:[0,1,1]
	s_delay_alu instid0(VALU_DEP_2) | instskip(NEXT) | instid1(VALU_DEP_1)
	v_mov_b32_e32 v29, v31
	v_pk_add_f32 v[6:7], v[6:7], v[28:29]
	s_and_not1_b32 exec_lo, exec_lo, s24
	s_cbranch_execnz .LBB32_10
; %bb.11:                               ;   in Loop: Header=BB32_8 Depth=1
	s_or_b32 exec_lo, exec_lo, s24
.LBB32_12:                              ;   in Loop: Header=BB32_8 Depth=1
	s_delay_alu instid0(SALU_CYCLE_1) | instskip(NEXT) | instid1(SALU_CYCLE_1)
	s_or_b32 exec_lo, exec_lo, s23
	s_and_b32 vcc_lo, exec_lo, s20
	s_cbranch_vccz .LBB32_19
; %bb.13:                               ;   in Loop: Header=BB32_8 Depth=1
	v_cmp_ne_u32_e32 vcc_lo, 31, v35
	v_add_co_ci_u32_e64 v8, null, 0, v35, vcc_lo
	v_cmp_gt_u32_e32 vcc_lo, 30, v35
	s_delay_alu instid0(VALU_DEP_2)
	v_lshlrev_b32_e32 v9, 2, v8
	v_cndmask_b32_e64 v26, 0, 2, vcc_lo
	v_cmp_gt_u32_e32 vcc_lo, 28, v35
	ds_bpermute_b32 v8, v9, v6
	ds_bpermute_b32 v9, v9, v7
	v_add_lshl_u32 v27, v26, v35, 2
	v_cndmask_b32_e64 v28, 0, 4, vcc_lo
	v_cmp_gt_u32_e32 vcc_lo, 24, v35
	s_delay_alu instid0(VALU_DEP_2)
	v_add_lshl_u32 v28, v28, v35, 2
	s_wait_dscnt 0x0
	v_pk_add_f32 v[8:9], v[6:7], v[8:9]
	ds_bpermute_b32 v26, v27, v8
	ds_bpermute_b32 v27, v27, v9
	s_wait_dscnt 0x0
	v_pk_add_f32 v[8:9], v[8:9], v[26:27]
	ds_bpermute_b32 v26, v28, v8
	ds_bpermute_b32 v27, v28, v9
	v_cndmask_b32_e64 v28, 0, 8, vcc_lo
	s_delay_alu instid0(VALU_DEP_1)
	v_add_lshl_u32 v28, v28, v35, 2
	s_wait_dscnt 0x0
	v_pk_add_f32 v[8:9], v[8:9], v[26:27]
	ds_bpermute_b32 v26, v28, v8
	ds_bpermute_b32 v27, v28, v9
	s_wait_dscnt 0x0
	v_pk_add_f32 v[8:9], v[8:9], v[26:27]
	ds_bpermute_b32 v26, v36, v8
	ds_bpermute_b32 v27, v36, v9
	s_wait_dscnt 0x0
	v_pk_add_f32 v[8:9], v[8:9], v[26:27]
	s_and_saveexec_b32 s23, s3
; %bb.14:                               ;   in Loop: Header=BB32_8 Depth=1
	ds_store_2addr_b32 v37, v8, v9 offset1:1
; %bb.15:                               ;   in Loop: Header=BB32_8 Depth=1
	s_or_b32 exec_lo, exec_lo, s23
	s_mov_b32 s24, 0
	s_mov_b32 s23, 0
	s_wait_dscnt 0x0
	s_barrier_signal -1
	s_barrier_wait -1
                                        ; implicit-def: $vgpr26_vgpr27
	s_and_saveexec_b32 s25, s2
	s_delay_alu instid0(SALU_CYCLE_1)
	s_xor_b32 s25, exec_lo, s25
	s_cbranch_execz .LBB32_17
; %bb.16:                               ;   in Loop: Header=BB32_8 Depth=1
	ds_load_2addr_b64 v[26:29], v38 offset1:1
	ds_load_2addr_b64 v[30:33], v39 offset1:1
	;; [unrolled: 1-line block ×3, first 2 shown]
	s_mov_b32 s23, exec_lo
	s_wait_dscnt 0x2
	v_pk_add_f32 v[8:9], v[8:9], v[26:27]
	ds_load_b64 v[26:27], v3 offset:16440
	v_pk_add_f32 v[8:9], v[8:9], v[28:29]
	s_wait_dscnt 0x2
	s_delay_alu instid0(VALU_DEP_1) | instskip(NEXT) | instid1(VALU_DEP_1)
	v_pk_add_f32 v[8:9], v[8:9], v[30:31]
	v_pk_add_f32 v[8:9], v[8:9], v[32:33]
	s_wait_dscnt 0x1
	s_delay_alu instid0(VALU_DEP_1) | instskip(NEXT) | instid1(VALU_DEP_1)
	v_pk_add_f32 v[8:9], v[8:9], v[42:43]
	v_pk_add_f32 v[8:9], v[8:9], v[44:45]
	s_wait_dscnt 0x0
	s_delay_alu instid0(VALU_DEP_1)
	v_pk_add_f32 v[26:27], v[8:9], v[26:27]
.LBB32_17:                              ;   in Loop: Header=BB32_8 Depth=1
	s_or_b32 exec_lo, exec_lo, s25
	s_delay_alu instid0(SALU_CYCLE_1)
	s_and_b32 vcc_lo, exec_lo, s24
	s_cbranch_vccnz .LBB32_20
.LBB32_18:                              ;   in Loop: Header=BB32_8 Depth=1
	s_delay_alu instid0(VALU_DEP_1)
	v_mov_b64_e32 v[6:7], v[26:27]
	s_and_saveexec_b32 s24, s23
	s_cbranch_execnz .LBB32_21
	s_branch .LBB32_22
.LBB32_19:                              ;   in Loop: Header=BB32_8 Depth=1
	s_mov_b32 s23, 0
                                        ; implicit-def: $vgpr26_vgpr27
	s_cbranch_execz .LBB32_18
.LBB32_20:                              ;   in Loop: Header=BB32_8 Depth=1
	s_and_not1_b32 s23, s23, exec_lo
	s_and_b32 s24, s2, exec_lo
	s_delay_alu instid0(SALU_CYCLE_1) | instskip(NEXT) | instid1(SALU_CYCLE_1)
	s_or_b32 s23, s23, s24
	s_and_saveexec_b32 s24, s23
.LBB32_21:                              ;   in Loop: Header=BB32_8 Depth=1
	ds_store_b64 v3, v[6:7] offset:16384
.LBB32_22:                              ;   in Loop: Header=BB32_8 Depth=1
	s_or_b32 exec_lo, exec_lo, s24
	s_wait_dscnt 0x0
	s_barrier_signal -1
	s_barrier_wait -1
	s_and_saveexec_b32 s23, s0
	s_cbranch_execz .LBB32_7
; %bb.23:                               ;   in Loop: Header=BB32_8 Depth=1
	global_load_b64 v[8:9], v3, s[12:13]
	ds_load_b64 v[30:31], v3 offset:16384
	s_mov_b32 s25, s21
	s_wait_loadcnt_dscnt 0x0
	v_dual_mul_f32 v6, v9, v31 :: v_dual_mul_f32 v7, v9, v30
	v_xor_b32_e32 v9, 0x80000000, v8
	s_delay_alu instid0(VALU_DEP_2) | instskip(NEXT) | instid1(VALU_DEP_3)
	v_xor_b32_e32 v26, 0x80000000, v6
	v_xor_b32_e32 v28, 0x80000000, v7
	v_mov_b64_e32 v[6:7], v[0:1]
	s_delay_alu instid0(VALU_DEP_2)
	v_dual_fmac_f32 v26, v30, v9 :: v_dual_fmac_f32 v28, v8, v31
	v_mov_b64_e32 v[8:9], v[10:11]
	s_wait_xcnt 0x0
	s_and_saveexec_b32 s24, s4
	s_cbranch_execz .LBB32_31
; %bb.24:                               ;   in Loop: Header=BB32_8 Depth=1
	v_mad_nc_u64_u32 v[6:7], s16, s18, v[18:19]
	s_mul_i32 s25, s17, s18
	s_mul_i32 s26, s16, s19
	s_delay_alu instid0(VALU_DEP_1) | instid1(SALU_CYCLE_1)
	v_add3_u32 v7, s26, s25, v7
	s_mov_b32 s26, -1
	s_delay_alu instid0(VALU_DEP_1) | instskip(NEXT) | instid1(VALU_DEP_1)
	v_add_nc_u64_e32 v[8:9], v[6:7], v[14:15]
	v_cmp_ge_u64_e32 vcc_lo, v[8:9], v[6:7]
	v_mov_b64_e32 v[6:7], v[0:1]
	v_mov_b64_e32 v[8:9], v[10:11]
	s_and_b32 s27, vcc_lo, s22
	s_delay_alu instid0(SALU_CYCLE_1)
	s_and_saveexec_b32 s25, s27
	s_cbranch_execz .LBB32_30
; %bb.25:                               ;   in Loop: Header=BB32_8 Depth=1
	v_mov_b64_e32 v[8:9], v[4:5]
	v_mov_b64_e32 v[30:31], v[12:13]
	;; [unrolled: 1-line block ×4, first 2 shown]
	v_dual_mov_b32 v27, v26 :: v_dual_mov_b32 v29, v28
	s_mov_b32 s26, 0
.LBB32_26:                              ;   Parent Loop BB32_8 Depth=1
                                        ; =>  This Inner Loop Header: Depth=2
	s_clause 0x1
	flat_load_b64 v[42:43], v[32:33] offset:-2052
	flat_load_b64 v[44:45], v[32:33] offset:-4
	v_dual_lshlrev_b32 v41, 3, v8 :: v_dual_lshlrev_b32 v48, 3, v6
	v_add_nc_u64_e32 v[30:31], -2, v[30:31]
	v_add_nc_u64_e32 v[8:9], 0x200, v[8:9]
	ds_load_b64 v[46:47], v41
	ds_load_b64 v[48:49], v48
	v_add_nc_u64_e32 v[6:7], 0x200, v[6:7]
	v_cmp_eq_u64_e32 vcc_lo, 0, v[30:31]
	s_or_b32 s26, vcc_lo, s26
	s_wait_dscnt 0x0
	v_dual_mov_b32 v51, v46 :: v_dual_mov_b32 v46, v49
	v_mov_b32_e32 v50, v48
	s_delay_alu instid0(VALU_DEP_2) | instskip(SKIP_1) | instid1(VALU_DEP_2)
	v_pk_mul_f32 v[48:49], v[28:29], v[46:47]
	v_pk_mul_f32 v[46:47], v[26:27], v[46:47]
	v_pk_fma_f32 v[48:49], v[26:27], v[50:51], v[48:49] neg_lo:[0,0,1] neg_hi:[0,0,1]
	s_delay_alu instid0(VALU_DEP_2) | instskip(SKIP_3) | instid1(VALU_DEP_2)
	v_pk_fma_f32 v[46:47], v[28:29], v[50:51], v[46:47]
	s_wait_loadcnt 0x0
	v_dual_mov_b32 v50, v42 :: v_dual_mov_b32 v51, v44
	v_mov_b32_e32 v44, v43
	v_pk_add_f32 v[42:43], v[50:51], v[48:49]
	s_delay_alu instid0(VALU_DEP_2) | instskip(NEXT) | instid1(VALU_DEP_1)
	v_pk_add_f32 v[44:45], v[46:47], v[44:45]
	v_dual_mov_b32 v46, v42 :: v_dual_mov_b32 v47, v44
	s_delay_alu instid0(VALU_DEP_3)
	v_mov_b32_e32 v44, v43
	s_clause 0x1
	flat_store_b64 v[32:33], v[46:47] offset:-2052
	flat_store_b64 v[32:33], v[44:45] offset:-4
	s_wait_xcnt 0x0
	v_add_nc_u64_e32 v[32:33], 0x1000, v[32:33]
	s_and_not1_b32 exec_lo, exec_lo, s26
	s_cbranch_execnz .LBB32_26
; %bb.27:                               ;   in Loop: Header=BB32_8 Depth=1
	s_or_b32 exec_lo, exec_lo, s26
	s_mov_b32 s26, 0
	s_and_saveexec_b32 s27, s5
; %bb.28:                               ;   in Loop: Header=BB32_8 Depth=1
	s_mov_b32 s26, exec_lo
; %bb.29:                               ;   in Loop: Header=BB32_8 Depth=1
	s_or_b32 exec_lo, exec_lo, s27
	v_mov_b64_e32 v[6:7], v[16:17]
	v_mov_b64_e32 v[8:9], v[24:25]
	s_or_not1_b32 s26, s26, exec_lo
.LBB32_30:                              ;   in Loop: Header=BB32_8 Depth=1
	s_or_b32 exec_lo, exec_lo, s25
	s_delay_alu instid0(SALU_CYCLE_1) | instskip(SKIP_1) | instid1(SALU_CYCLE_1)
	s_and_not1_b32 s25, s21, exec_lo
	s_and_b32 s26, s26, exec_lo
	s_or_b32 s25, s25, s26
.LBB32_31:                              ;   in Loop: Header=BB32_8 Depth=1
	s_or_b32 exec_lo, exec_lo, s24
	s_delay_alu instid0(SALU_CYCLE_1)
	s_and_b32 exec_lo, exec_lo, s25
	s_cbranch_execz .LBB32_7
; %bb.32:                               ;   in Loop: Header=BB32_8 Depth=1
	v_add_nc_u64_e32 v[8:9], s[14:15], v[8:9]
	v_dual_mov_b32 v29, v28 :: v_dual_mov_b32 v27, v26
	v_lshlrev_b32_e32 v30, 3, v6
	s_mov_b32 s24, 0
.LBB32_33:                              ;   Parent Loop BB32_8 Depth=1
                                        ; =>  This Inner Loop Header: Depth=2
	flat_load_b64 v[32:33], v[8:9]
	ds_load_b64 v[42:43], v30
	v_add_nc_u64_e32 v[6:7], 0x100, v[6:7]
	v_add_nc_u32_e32 v30, 0x800, v30
	s_delay_alu instid0(VALU_DEP_2) | instskip(SKIP_3) | instid1(VALU_DEP_1)
	v_cmp_le_i64_e32 vcc_lo, s[8:9], v[6:7]
	s_or_b32 s24, vcc_lo, s24
	s_wait_dscnt 0x0
	v_pk_mul_f32 v[44:45], v[28:29], v[42:43] op_sel:[0,1] op_sel_hi:[1,0]
	v_pk_fma_f32 v[46:47], v[26:27], v[42:43], v[44:45]
	v_pk_fma_f32 v[42:43], v[26:27], v[42:43], v[44:45] neg_lo:[0,0,1] neg_hi:[0,0,1]
	s_delay_alu instid0(VALU_DEP_2) | instskip(SKIP_1) | instid1(VALU_DEP_1)
	v_mov_b32_e32 v43, v47
	s_wait_loadcnt 0x0
	v_pk_add_f32 v[32:33], v[32:33], v[42:43]
	flat_store_b64 v[8:9], v[32:33]
	s_wait_xcnt 0x0
	v_add_nc_u64_e32 v[8:9], 0x800, v[8:9]
	s_and_not1_b32 exec_lo, exec_lo, s24
	s_cbranch_execnz .LBB32_33
	s_branch .LBB32_7
.LBB32_34:
	s_endpgm
	.section	.rodata,"a",@progbits
	.p2align	6, 0x0
	.amdhsa_kernel _ZN9rocsolver6v33100L22larf_left_kernel_smallILi256E19rocblas_complex_numIfElPKPS3_EEvT1_S7_T2_lS7_lPKT0_lS8_lS7_l
		.amdhsa_group_segment_fixed_size 18432
		.amdhsa_private_segment_fixed_size 0
		.amdhsa_kernarg_size 96
		.amdhsa_user_sgpr_count 2
		.amdhsa_user_sgpr_dispatch_ptr 0
		.amdhsa_user_sgpr_queue_ptr 0
		.amdhsa_user_sgpr_kernarg_segment_ptr 1
		.amdhsa_user_sgpr_dispatch_id 0
		.amdhsa_user_sgpr_kernarg_preload_length 0
		.amdhsa_user_sgpr_kernarg_preload_offset 0
		.amdhsa_user_sgpr_private_segment_size 0
		.amdhsa_wavefront_size32 1
		.amdhsa_uses_dynamic_stack 0
		.amdhsa_enable_private_segment 0
		.amdhsa_system_sgpr_workgroup_id_x 1
		.amdhsa_system_sgpr_workgroup_id_y 1
		.amdhsa_system_sgpr_workgroup_id_z 0
		.amdhsa_system_sgpr_workgroup_info 0
		.amdhsa_system_vgpr_workitem_id 0
		.amdhsa_next_free_vgpr 52
		.amdhsa_next_free_sgpr 28
		.amdhsa_named_barrier_count 0
		.amdhsa_reserve_vcc 1
		.amdhsa_float_round_mode_32 0
		.amdhsa_float_round_mode_16_64 0
		.amdhsa_float_denorm_mode_32 3
		.amdhsa_float_denorm_mode_16_64 3
		.amdhsa_fp16_overflow 0
		.amdhsa_memory_ordered 1
		.amdhsa_forward_progress 1
		.amdhsa_inst_pref_size 17
		.amdhsa_round_robin_scheduling 0
		.amdhsa_exception_fp_ieee_invalid_op 0
		.amdhsa_exception_fp_denorm_src 0
		.amdhsa_exception_fp_ieee_div_zero 0
		.amdhsa_exception_fp_ieee_overflow 0
		.amdhsa_exception_fp_ieee_underflow 0
		.amdhsa_exception_fp_ieee_inexact 0
		.amdhsa_exception_int_div_zero 0
	.end_amdhsa_kernel
	.section	.text._ZN9rocsolver6v33100L22larf_left_kernel_smallILi256E19rocblas_complex_numIfElPKPS3_EEvT1_S7_T2_lS7_lPKT0_lS8_lS7_l,"axG",@progbits,_ZN9rocsolver6v33100L22larf_left_kernel_smallILi256E19rocblas_complex_numIfElPKPS3_EEvT1_S7_T2_lS7_lPKT0_lS8_lS7_l,comdat
.Lfunc_end32:
	.size	_ZN9rocsolver6v33100L22larf_left_kernel_smallILi256E19rocblas_complex_numIfElPKPS3_EEvT1_S7_T2_lS7_lPKT0_lS8_lS7_l, .Lfunc_end32-_ZN9rocsolver6v33100L22larf_left_kernel_smallILi256E19rocblas_complex_numIfElPKPS3_EEvT1_S7_T2_lS7_lPKT0_lS8_lS7_l
                                        ; -- End function
	.set _ZN9rocsolver6v33100L22larf_left_kernel_smallILi256E19rocblas_complex_numIfElPKPS3_EEvT1_S7_T2_lS7_lPKT0_lS8_lS7_l.num_vgpr, 52
	.set _ZN9rocsolver6v33100L22larf_left_kernel_smallILi256E19rocblas_complex_numIfElPKPS3_EEvT1_S7_T2_lS7_lPKT0_lS8_lS7_l.num_agpr, 0
	.set _ZN9rocsolver6v33100L22larf_left_kernel_smallILi256E19rocblas_complex_numIfElPKPS3_EEvT1_S7_T2_lS7_lPKT0_lS8_lS7_l.numbered_sgpr, 28
	.set _ZN9rocsolver6v33100L22larf_left_kernel_smallILi256E19rocblas_complex_numIfElPKPS3_EEvT1_S7_T2_lS7_lPKT0_lS8_lS7_l.num_named_barrier, 0
	.set _ZN9rocsolver6v33100L22larf_left_kernel_smallILi256E19rocblas_complex_numIfElPKPS3_EEvT1_S7_T2_lS7_lPKT0_lS8_lS7_l.private_seg_size, 0
	.set _ZN9rocsolver6v33100L22larf_left_kernel_smallILi256E19rocblas_complex_numIfElPKPS3_EEvT1_S7_T2_lS7_lPKT0_lS8_lS7_l.uses_vcc, 1
	.set _ZN9rocsolver6v33100L22larf_left_kernel_smallILi256E19rocblas_complex_numIfElPKPS3_EEvT1_S7_T2_lS7_lPKT0_lS8_lS7_l.uses_flat_scratch, 1
	.set _ZN9rocsolver6v33100L22larf_left_kernel_smallILi256E19rocblas_complex_numIfElPKPS3_EEvT1_S7_T2_lS7_lPKT0_lS8_lS7_l.has_dyn_sized_stack, 0
	.set _ZN9rocsolver6v33100L22larf_left_kernel_smallILi256E19rocblas_complex_numIfElPKPS3_EEvT1_S7_T2_lS7_lPKT0_lS8_lS7_l.has_recursion, 0
	.set _ZN9rocsolver6v33100L22larf_left_kernel_smallILi256E19rocblas_complex_numIfElPKPS3_EEvT1_S7_T2_lS7_lPKT0_lS8_lS7_l.has_indirect_call, 0
	.section	.AMDGPU.csdata,"",@progbits
; Kernel info:
; codeLenInByte = 2068
; TotalNumSgprs: 30
; NumVgprs: 52
; ScratchSize: 0
; MemoryBound: 0
; FloatMode: 240
; IeeeMode: 1
; LDSByteSize: 18432 bytes/workgroup (compile time only)
; SGPRBlocks: 0
; VGPRBlocks: 3
; NumSGPRsForWavesPerEU: 30
; NumVGPRsForWavesPerEU: 52
; NamedBarCnt: 0
; Occupancy: 16
; WaveLimiterHint : 1
; COMPUTE_PGM_RSRC2:SCRATCH_EN: 0
; COMPUTE_PGM_RSRC2:USER_SGPR: 2
; COMPUTE_PGM_RSRC2:TRAP_HANDLER: 0
; COMPUTE_PGM_RSRC2:TGID_X_EN: 1
; COMPUTE_PGM_RSRC2:TGID_Y_EN: 1
; COMPUTE_PGM_RSRC2:TGID_Z_EN: 0
; COMPUTE_PGM_RSRC2:TIDIG_COMP_CNT: 0
	.section	.text._ZN9rocsolver6v33100L22larf_left_kernel_smallILi512E19rocblas_complex_numIfElPKPS3_EEvT1_S7_T2_lS7_lPKT0_lS8_lS7_l,"axG",@progbits,_ZN9rocsolver6v33100L22larf_left_kernel_smallILi512E19rocblas_complex_numIfElPKPS3_EEvT1_S7_T2_lS7_lPKT0_lS8_lS7_l,comdat
	.globl	_ZN9rocsolver6v33100L22larf_left_kernel_smallILi512E19rocblas_complex_numIfElPKPS3_EEvT1_S7_T2_lS7_lPKT0_lS8_lS7_l ; -- Begin function _ZN9rocsolver6v33100L22larf_left_kernel_smallILi512E19rocblas_complex_numIfElPKPS3_EEvT1_S7_T2_lS7_lPKT0_lS8_lS7_l
	.p2align	8
	.type	_ZN9rocsolver6v33100L22larf_left_kernel_smallILi512E19rocblas_complex_numIfElPKPS3_EEvT1_S7_T2_lS7_lPKT0_lS8_lS7_l,@function
_ZN9rocsolver6v33100L22larf_left_kernel_smallILi512E19rocblas_complex_numIfElPKPS3_EEvT1_S7_T2_lS7_lPKT0_lS8_lS7_l: ; @_ZN9rocsolver6v33100L22larf_left_kernel_smallILi512E19rocblas_complex_numIfElPKPS3_EEvT1_S7_T2_lS7_lPKT0_lS8_lS7_l
; %bb.0:
	s_clause 0x3
	s_load_b64 s[6:7], s[0:1], 0x20
	s_load_b256 s[8:15], s[0:1], 0x0
	s_load_b256 s[16:23], s[0:1], 0x30
	s_load_b64 s[24:25], s[0:1], 0x50
	s_wait_xcnt 0x0
	s_bfe_u32 s0, ttmp6, 0x4000c
	s_and_b32 s2, ttmp6, 15
	s_add_co_i32 s0, s0, 1
	s_getreg_b32 s1, hwreg(HW_REG_IB_STS2, 6, 4)
	s_mul_i32 s0, ttmp9, s0
	s_mov_b32 s3, 0
	s_add_co_i32 s2, s2, s0
	s_cmp_eq_u32 s1, 0
	s_mov_b64 s[26:27], 0
	s_cselect_b32 s2, ttmp9, s2
	s_wait_kmcnt 0x0
	v_cmp_gt_i64_e64 s4, s[6:7], 0
	s_and_b32 vcc_lo, exec_lo, s4
	s_cbranch_vccnz .LBB33_2
; %bb.1:
	s_sub_nc_u64 s[4:5], 1, s[8:9]
	s_delay_alu instid0(SALU_CYCLE_1)
	s_mul_u64 s[26:27], s[6:7], s[4:5]
.LBB33_2:
	s_load_b64 s[4:5], s[20:21], s2 offset:0x0 scale_offset
	v_dual_mov_b32 v1, 0 :: v_dual_lshlrev_b32 v34, 3, v0
	s_delay_alu instid0(VALU_DEP_1)
	v_cmp_gt_i64_e64 s0, s[8:9], v[0:1]
	s_wait_xcnt 0x0
	s_and_saveexec_b32 s20, s0
	s_cbranch_execz .LBB33_5
; %bb.3:
	v_mul_u64_e32 v[2:3], s[6:7], v[0:1]
	s_load_b64 s[12:13], s[12:13], s2 offset:0x0 scale_offset
	s_lshl_b64 s[14:15], s[14:15], 3
	s_lshl_b64 s[26:27], s[26:27], 3
	v_mov_b64_e32 v[4:5], v[0:1]
	v_lshlrev_b32_e32 v6, 3, v0
	s_lshl_b64 s[6:7], s[6:7], 12
	s_wait_kmcnt 0x0
	s_add_nc_u64 s[12:13], s[12:13], s[14:15]
	s_delay_alu instid0(SALU_CYCLE_1)
	s_add_nc_u64 s[12:13], s[12:13], s[26:27]
	s_delay_alu instid0(VALU_DEP_3) | instid1(SALU_CYCLE_1)
	v_lshl_add_u64 v[2:3], v[2:3], 3, s[12:13]
	s_mov_b32 s12, 0
.LBB33_4:                               ; =>This Inner Loop Header: Depth=1
	flat_load_b64 v[8:9], v[2:3]
	v_add_nc_u64_e32 v[4:5], 0x200, v[4:5]
	s_wait_xcnt 0x0
	v_add_nc_u64_e32 v[2:3], s[6:7], v[2:3]
	s_delay_alu instid0(VALU_DEP_2)
	v_cmp_le_i64_e32 vcc_lo, s[8:9], v[4:5]
	s_or_b32 s12, vcc_lo, s12
	s_wait_loadcnt_dscnt 0x0
	ds_store_b64 v6, v[8:9]
	v_add_nc_u32_e32 v6, 0x1000, v6
	s_and_not1_b32 exec_lo, exec_lo, s12
	s_cbranch_execnz .LBB33_4
.LBB33_5:
	s_or_b32 exec_lo, exec_lo, s20
	s_bfe_u32 s6, ttmp6, 0x40010
	s_bfe_u32 s7, ttmp6, 0x40004
	s_add_co_i32 s6, s6, 1
	s_wait_dscnt 0x0
	s_mul_i32 s6, ttmp7, s6
	s_barrier_signal -1
	s_add_co_i32 s6, s7, s6
	s_cmp_eq_u32 s1, 0
	s_mov_b32 s7, 0
	s_cselect_b32 s6, ttmp7, s6
	s_barrier_wait -1
	v_cmp_le_i64_e64 s1, s[10:11], s[6:7]
	s_and_b32 vcc_lo, exec_lo, s1
	s_cbranch_vccnz .LBB33_34
; %bb.6:
	v_mov_b32_e32 v3, -1
	v_not_b32_e32 v2, v0
	s_mul_u64 s[12:13], s[18:19], s[2:3]
	v_lshrrev_b32_e32 v24, 2, v0
	s_mul_u64 s[14:15], s[24:25], s[6:7]
	s_lshl_b64 s[12:13], s[12:13], 3
	v_add_nc_u64_e32 v[6:7], s[8:9], v[2:3]
	v_mov_b32_e32 v3, 0
	s_add_nc_u64 s[20:21], s[14:15], s[22:23]
	s_cmp_gt_i32 s8, 1
	s_add_nc_u64 s[12:13], s[16:17], s[12:13]
	v_add_nc_u64_e32 v[18:19], s[20:21], v[0:1]
	s_cselect_b32 s20, -1, 0
	v_lshrrev_b64 v[8:9], 9, v[6:7]
	s_lshl_b64 s[14:15], s[14:15], 3
	s_lshl_b64 s[16:17], s[22:23], 3
	v_lshlrev_b64_e32 v[14:15], 3, v[6:7]
	s_add_nc_u64 s[14:15], s[14:15], s[16:17]
	s_mov_b64 s[18:19], 0x1fffffffffffffff
	s_wait_kmcnt 0x0
	s_add_nc_u64 s[14:15], s[4:5], s[14:15]
	v_add_nc_u64_e32 v[8:9], 1, v[8:9]
	v_dual_lshlrev_b32 v10, 3, v0 :: v_dual_bitop2_b32 v2, 31, v0 bitop3:0x40
	v_mbcnt_lo_u32_b32 v35, -1, 0
	v_cmp_lt_u64_e32 vcc_lo, s[18:19], v[6:7]
	v_lshl_add_u64 v[18:19], v[18:19], 3, s[4:5]
	v_dual_mov_b32 v11, v3 :: v_dual_bitop2_b32 v12, -2, v8 bitop3:0x40
	v_mov_b32_e32 v13, v9
	v_cmp_gt_u64_e64 s21, 0x600, v[6:7]
	v_cmp_lt_u64_e64 s4, 0x5ff, v[6:7]
	s_delay_alu instid0(VALU_DEP_4)
	v_add_nc_u64_e32 v[20:21], s[14:15], v[10:11]
	v_or_b32_e32 v37, 0x4000, v24
	v_lshlrev_b64_e32 v[16:17], 9, v[12:13]
	v_cmp_ne_u64_e64 s5, v[8:9], v[12:13]
	v_cmp_gt_i32_e64 s1, s8, v0
	v_cmp_eq_u32_e64 s2, 0, v0
	v_or_b32_e32 v4, 0x200, v0
	v_mov_b32_e32 v5, v3
	v_add_nc_u64_e32 v[22:23], 0x1004, v[20:21]
	v_or_b32_e32 v16, v16, v0
	v_cmp_eq_u32_e64 s3, 0, v2
	v_and_b32_e32 v14, 0xfffff000, v14
	v_dual_mov_b32 v2, v0 :: v_dual_mov_b32 v39, 0x4018
	s_delay_alu instid0(VALU_DEP_4)
	v_lshlrev_b64_e32 v[24:25], 3, v[16:17]
	v_lshl_or_b32 v36, v35, 2, 64
	v_mov_b32_e32 v38, 0x4008
	v_mov_b32_e32 v40, 0x4028
	v_mov_b32_e32 v41, 0x4038
	v_mov_b32_e32 v42, 0x4048
	v_mov_b32_e32 v43, 0x4058
	v_mov_b32_e32 v44, 0x4068
	s_lshl_b64 s[16:17], s[24:25], 9
	s_mov_b64 s[18:19], 0
	s_xor_b32 s22, vcc_lo, -1
	s_branch .LBB33_8
.LBB33_7:                               ;   in Loop: Header=BB33_8 Depth=1
	s_or_b32 exec_lo, exec_lo, s23
	s_add_nc_u64 s[6:7], s[6:7], 64
	v_add_nc_u64_e32 v[20:21], s[16:17], v[20:21]
	v_cmp_ge_i64_e64 s23, s[6:7], s[10:11]
	v_add_nc_u64_e32 v[22:23], s[16:17], v[22:23]
	s_add_nc_u64 s[18:19], s[18:19], 1
	s_add_nc_u64 s[14:15], s[14:15], s[16:17]
	s_and_b32 vcc_lo, exec_lo, s23
	s_cbranch_vccnz .LBB33_34
.LBB33_8:                               ; =>This Loop Header: Depth=1
                                        ;     Child Loop BB33_10 Depth 2
                                        ;     Child Loop BB33_26 Depth 2
	;; [unrolled: 1-line block ×3, first 2 shown]
	v_mov_b64_e32 v[6:7], 0
	s_and_saveexec_b32 s23, s1
	s_cbranch_execz .LBB33_12
; %bb.9:                                ;   in Loop: Header=BB33_8 Depth=1
	v_dual_mov_b32 v6, 0 :: v_dual_mov_b32 v26, v34
	v_mov_b64_e32 v[8:9], v[20:21]
	v_mov_b32_e32 v27, v0
	s_mov_b32 s24, 0
	s_delay_alu instid0(VALU_DEP_3)
	v_mov_b32_e32 v7, v6
.LBB33_10:                              ;   Parent Loop BB33_8 Depth=1
                                        ; =>  This Inner Loop Header: Depth=2
	flat_load_b64 v[28:29], v[8:9]
	ds_load_b64 v[30:31], v26
	s_wait_xcnt 0x0
	v_add_nc_u64_e32 v[8:9], 0x1000, v[8:9]
	v_add_nc_u32_e32 v27, 0x200, v27
	v_add_nc_u32_e32 v26, 0x1000, v26
	s_delay_alu instid0(VALU_DEP_2)
	v_cmp_le_i32_e32 vcc_lo, s8, v27
	s_or_b32 s24, vcc_lo, s24
	s_wait_dscnt 0x0
	v_mov_b32_e32 v46, v31
	s_wait_loadcnt 0x0
	v_pk_mul_f32 v[32:33], v[28:29], v[30:31] op_sel_hi:[1,0]
	s_delay_alu instid0(VALU_DEP_1) | instskip(NEXT) | instid1(VALU_DEP_3)
	v_pk_fma_f32 v[30:31], v[28:29], v[30:31], v[32:33] op_sel:[1,1,0] op_sel_hi:[0,1,1] neg_lo:[0,0,1] neg_hi:[0,0,1]
	v_pk_fma_f32 v[28:29], v[28:29], v[46:47], v[32:33] op_sel:[1,0,0] op_sel_hi:[0,1,1]
	s_delay_alu instid0(VALU_DEP_2) | instskip(NEXT) | instid1(VALU_DEP_1)
	v_mov_b32_e32 v29, v31
	v_pk_add_f32 v[6:7], v[6:7], v[28:29]
	s_and_not1_b32 exec_lo, exec_lo, s24
	s_cbranch_execnz .LBB33_10
; %bb.11:                               ;   in Loop: Header=BB33_8 Depth=1
	s_or_b32 exec_lo, exec_lo, s24
.LBB33_12:                              ;   in Loop: Header=BB33_8 Depth=1
	s_delay_alu instid0(SALU_CYCLE_1) | instskip(NEXT) | instid1(SALU_CYCLE_1)
	s_or_b32 exec_lo, exec_lo, s23
	s_and_b32 vcc_lo, exec_lo, s20
	s_cbranch_vccz .LBB33_19
; %bb.13:                               ;   in Loop: Header=BB33_8 Depth=1
	v_cmp_ne_u32_e32 vcc_lo, 31, v35
	v_add_co_ci_u32_e64 v8, null, 0, v35, vcc_lo
	v_cmp_gt_u32_e32 vcc_lo, 30, v35
	s_delay_alu instid0(VALU_DEP_2)
	v_lshlrev_b32_e32 v9, 2, v8
	v_cndmask_b32_e64 v26, 0, 2, vcc_lo
	v_cmp_gt_u32_e32 vcc_lo, 28, v35
	ds_bpermute_b32 v8, v9, v6
	ds_bpermute_b32 v9, v9, v7
	v_add_lshl_u32 v27, v26, v35, 2
	v_cndmask_b32_e64 v28, 0, 4, vcc_lo
	v_cmp_gt_u32_e32 vcc_lo, 24, v35
	s_delay_alu instid0(VALU_DEP_2)
	v_add_lshl_u32 v28, v28, v35, 2
	s_wait_dscnt 0x0
	v_pk_add_f32 v[8:9], v[6:7], v[8:9]
	ds_bpermute_b32 v26, v27, v8
	ds_bpermute_b32 v27, v27, v9
	s_wait_dscnt 0x0
	v_pk_add_f32 v[8:9], v[8:9], v[26:27]
	ds_bpermute_b32 v26, v28, v8
	ds_bpermute_b32 v27, v28, v9
	v_cndmask_b32_e64 v28, 0, 8, vcc_lo
	s_delay_alu instid0(VALU_DEP_1)
	v_add_lshl_u32 v28, v28, v35, 2
	s_wait_dscnt 0x0
	v_pk_add_f32 v[8:9], v[8:9], v[26:27]
	ds_bpermute_b32 v26, v28, v8
	ds_bpermute_b32 v27, v28, v9
	s_wait_dscnt 0x0
	v_pk_add_f32 v[8:9], v[8:9], v[26:27]
	ds_bpermute_b32 v26, v36, v8
	ds_bpermute_b32 v27, v36, v9
	s_wait_dscnt 0x0
	v_pk_add_f32 v[8:9], v[8:9], v[26:27]
	s_and_saveexec_b32 s23, s3
; %bb.14:                               ;   in Loop: Header=BB33_8 Depth=1
	ds_store_2addr_b32 v37, v8, v9 offset1:1
; %bb.15:                               ;   in Loop: Header=BB33_8 Depth=1
	s_or_b32 exec_lo, exec_lo, s23
	s_mov_b32 s24, 0
	s_mov_b32 s23, 0
	s_wait_dscnt 0x0
	s_barrier_signal -1
	s_barrier_wait -1
                                        ; implicit-def: $vgpr26_vgpr27
	s_and_saveexec_b32 s25, s2
	s_delay_alu instid0(SALU_CYCLE_1)
	s_xor_b32 s25, exec_lo, s25
	s_cbranch_execz .LBB33_17
; %bb.16:                               ;   in Loop: Header=BB33_8 Depth=1
	ds_load_2addr_b64 v[26:29], v38 offset1:1
	ds_load_2addr_b64 v[30:33], v39 offset1:1
	;; [unrolled: 1-line block ×3, first 2 shown]
	s_mov_b32 s23, exec_lo
	s_wait_dscnt 0x2
	v_pk_add_f32 v[8:9], v[8:9], v[26:27]
	s_delay_alu instid0(VALU_DEP_1) | instskip(SKIP_3) | instid1(VALU_DEP_1)
	v_pk_add_f32 v[8:9], v[8:9], v[28:29]
	ds_load_2addr_b64 v[26:29], v41 offset1:1
	s_wait_dscnt 0x2
	v_pk_add_f32 v[8:9], v[8:9], v[30:31]
	v_pk_add_f32 v[8:9], v[8:9], v[32:33]
	ds_load_2addr_b64 v[30:33], v42 offset1:1
	s_wait_dscnt 0x2
	v_pk_add_f32 v[8:9], v[8:9], v[46:47]
	s_delay_alu instid0(VALU_DEP_1) | instskip(SKIP_3) | instid1(VALU_DEP_1)
	v_pk_add_f32 v[8:9], v[8:9], v[48:49]
	ds_load_2addr_b64 v[46:49], v43 offset1:1
	s_wait_dscnt 0x2
	v_pk_add_f32 v[8:9], v[8:9], v[26:27]
	v_pk_add_f32 v[8:9], v[8:9], v[28:29]
	ds_load_2addr_b64 v[26:29], v44 offset1:1
	s_wait_dscnt 0x2
	v_pk_add_f32 v[8:9], v[8:9], v[30:31]
	ds_load_b64 v[30:31], v3 offset:16504
	v_pk_add_f32 v[8:9], v[8:9], v[32:33]
	s_wait_dscnt 0x2
	s_delay_alu instid0(VALU_DEP_1) | instskip(NEXT) | instid1(VALU_DEP_1)
	v_pk_add_f32 v[8:9], v[8:9], v[46:47]
	v_pk_add_f32 v[8:9], v[8:9], v[48:49]
	s_wait_dscnt 0x1
	s_delay_alu instid0(VALU_DEP_1) | instskip(NEXT) | instid1(VALU_DEP_1)
	v_pk_add_f32 v[8:9], v[8:9], v[26:27]
	v_pk_add_f32 v[8:9], v[8:9], v[28:29]
	s_wait_dscnt 0x0
	s_delay_alu instid0(VALU_DEP_1)
	v_pk_add_f32 v[26:27], v[8:9], v[30:31]
.LBB33_17:                              ;   in Loop: Header=BB33_8 Depth=1
	s_or_b32 exec_lo, exec_lo, s25
	s_delay_alu instid0(SALU_CYCLE_1)
	s_and_b32 vcc_lo, exec_lo, s24
	s_cbranch_vccnz .LBB33_20
.LBB33_18:                              ;   in Loop: Header=BB33_8 Depth=1
	s_delay_alu instid0(VALU_DEP_1)
	v_mov_b64_e32 v[6:7], v[26:27]
	s_and_saveexec_b32 s24, s23
	s_cbranch_execnz .LBB33_21
	s_branch .LBB33_22
.LBB33_19:                              ;   in Loop: Header=BB33_8 Depth=1
	s_mov_b32 s23, 0
                                        ; implicit-def: $vgpr26_vgpr27
	s_cbranch_execz .LBB33_18
.LBB33_20:                              ;   in Loop: Header=BB33_8 Depth=1
	s_and_not1_b32 s23, s23, exec_lo
	s_and_b32 s24, s2, exec_lo
	s_delay_alu instid0(SALU_CYCLE_1) | instskip(NEXT) | instid1(SALU_CYCLE_1)
	s_or_b32 s23, s23, s24
	s_and_saveexec_b32 s24, s23
.LBB33_21:                              ;   in Loop: Header=BB33_8 Depth=1
	ds_store_b64 v3, v[6:7] offset:16384
.LBB33_22:                              ;   in Loop: Header=BB33_8 Depth=1
	s_or_b32 exec_lo, exec_lo, s24
	s_wait_dscnt 0x0
	s_barrier_signal -1
	s_barrier_wait -1
	s_and_saveexec_b32 s23, s0
	s_cbranch_execz .LBB33_7
; %bb.23:                               ;   in Loop: Header=BB33_8 Depth=1
	global_load_b64 v[8:9], v3, s[12:13]
	ds_load_b64 v[30:31], v3 offset:16384
	s_mov_b32 s25, s21
	s_wait_loadcnt_dscnt 0x0
	v_dual_mul_f32 v6, v9, v31 :: v_dual_mul_f32 v7, v9, v30
	v_xor_b32_e32 v9, 0x80000000, v8
	s_delay_alu instid0(VALU_DEP_2) | instskip(NEXT) | instid1(VALU_DEP_3)
	v_xor_b32_e32 v26, 0x80000000, v6
	v_xor_b32_e32 v28, 0x80000000, v7
	v_mov_b64_e32 v[6:7], v[0:1]
	s_delay_alu instid0(VALU_DEP_2)
	v_dual_fmac_f32 v26, v30, v9 :: v_dual_fmac_f32 v28, v8, v31
	v_mov_b64_e32 v[8:9], v[10:11]
	s_wait_xcnt 0x0
	s_and_saveexec_b32 s24, s4
	s_cbranch_execz .LBB33_31
; %bb.24:                               ;   in Loop: Header=BB33_8 Depth=1
	v_mad_nc_u64_u32 v[6:7], s16, s18, v[18:19]
	s_mul_i32 s25, s17, s18
	s_mul_i32 s26, s16, s19
	s_delay_alu instid0(VALU_DEP_1) | instid1(SALU_CYCLE_1)
	v_add3_u32 v7, s26, s25, v7
	s_mov_b32 s26, -1
	s_delay_alu instid0(VALU_DEP_1) | instskip(NEXT) | instid1(VALU_DEP_1)
	v_add_nc_u64_e32 v[8:9], v[6:7], v[14:15]
	v_cmp_ge_u64_e32 vcc_lo, v[8:9], v[6:7]
	v_mov_b64_e32 v[6:7], v[0:1]
	v_mov_b64_e32 v[8:9], v[10:11]
	s_and_b32 s27, vcc_lo, s22
	s_delay_alu instid0(SALU_CYCLE_1)
	s_and_saveexec_b32 s25, s27
	s_cbranch_execz .LBB33_30
; %bb.25:                               ;   in Loop: Header=BB33_8 Depth=1
	v_mov_b64_e32 v[8:9], v[4:5]
	v_mov_b64_e32 v[30:31], v[12:13]
	;; [unrolled: 1-line block ×4, first 2 shown]
	v_dual_mov_b32 v27, v26 :: v_dual_mov_b32 v29, v28
	s_mov_b32 s26, 0
.LBB33_26:                              ;   Parent Loop BB33_8 Depth=1
                                        ; =>  This Inner Loop Header: Depth=2
	s_clause 0x1
	flat_load_b64 v[46:47], v[32:33] offset:-4100
	flat_load_b64 v[48:49], v[32:33] offset:-4
	v_dual_lshlrev_b32 v45, 3, v8 :: v_dual_lshlrev_b32 v52, 3, v6
	v_add_nc_u64_e32 v[30:31], -2, v[30:31]
	v_add_nc_u64_e32 v[8:9], 0x400, v[8:9]
	ds_load_b64 v[50:51], v45
	ds_load_b64 v[52:53], v52
	v_add_nc_u64_e32 v[6:7], 0x400, v[6:7]
	v_cmp_eq_u64_e32 vcc_lo, 0, v[30:31]
	s_or_b32 s26, vcc_lo, s26
	s_wait_dscnt 0x0
	v_dual_mov_b32 v55, v50 :: v_dual_mov_b32 v50, v53
	v_mov_b32_e32 v54, v52
	s_delay_alu instid0(VALU_DEP_2) | instskip(SKIP_1) | instid1(VALU_DEP_2)
	v_pk_mul_f32 v[52:53], v[28:29], v[50:51]
	v_pk_mul_f32 v[50:51], v[26:27], v[50:51]
	v_pk_fma_f32 v[52:53], v[26:27], v[54:55], v[52:53] neg_lo:[0,0,1] neg_hi:[0,0,1]
	s_delay_alu instid0(VALU_DEP_2) | instskip(SKIP_3) | instid1(VALU_DEP_2)
	v_pk_fma_f32 v[50:51], v[28:29], v[54:55], v[50:51]
	s_wait_loadcnt 0x0
	v_dual_mov_b32 v54, v46 :: v_dual_mov_b32 v55, v48
	v_mov_b32_e32 v48, v47
	v_pk_add_f32 v[46:47], v[54:55], v[52:53]
	s_delay_alu instid0(VALU_DEP_2) | instskip(NEXT) | instid1(VALU_DEP_1)
	v_pk_add_f32 v[48:49], v[50:51], v[48:49]
	v_dual_mov_b32 v50, v46 :: v_dual_mov_b32 v51, v48
	s_delay_alu instid0(VALU_DEP_3)
	v_mov_b32_e32 v48, v47
	s_clause 0x1
	flat_store_b64 v[32:33], v[50:51] offset:-4100
	flat_store_b64 v[32:33], v[48:49] offset:-4
	s_wait_xcnt 0x0
	v_add_nc_u64_e32 v[32:33], 0x2000, v[32:33]
	s_and_not1_b32 exec_lo, exec_lo, s26
	s_cbranch_execnz .LBB33_26
; %bb.27:                               ;   in Loop: Header=BB33_8 Depth=1
	s_or_b32 exec_lo, exec_lo, s26
	s_mov_b32 s26, 0
	s_and_saveexec_b32 s27, s5
; %bb.28:                               ;   in Loop: Header=BB33_8 Depth=1
	s_mov_b32 s26, exec_lo
; %bb.29:                               ;   in Loop: Header=BB33_8 Depth=1
	s_or_b32 exec_lo, exec_lo, s27
	v_mov_b64_e32 v[6:7], v[16:17]
	v_mov_b64_e32 v[8:9], v[24:25]
	s_or_not1_b32 s26, s26, exec_lo
.LBB33_30:                              ;   in Loop: Header=BB33_8 Depth=1
	s_or_b32 exec_lo, exec_lo, s25
	s_delay_alu instid0(SALU_CYCLE_1) | instskip(SKIP_1) | instid1(SALU_CYCLE_1)
	s_and_not1_b32 s25, s21, exec_lo
	s_and_b32 s26, s26, exec_lo
	s_or_b32 s25, s25, s26
.LBB33_31:                              ;   in Loop: Header=BB33_8 Depth=1
	s_or_b32 exec_lo, exec_lo, s24
	s_delay_alu instid0(SALU_CYCLE_1)
	s_and_b32 exec_lo, exec_lo, s25
	s_cbranch_execz .LBB33_7
; %bb.32:                               ;   in Loop: Header=BB33_8 Depth=1
	v_add_nc_u64_e32 v[8:9], s[14:15], v[8:9]
	v_dual_mov_b32 v29, v28 :: v_dual_mov_b32 v27, v26
	v_lshlrev_b32_e32 v30, 3, v6
	s_mov_b32 s24, 0
.LBB33_33:                              ;   Parent Loop BB33_8 Depth=1
                                        ; =>  This Inner Loop Header: Depth=2
	flat_load_b64 v[32:33], v[8:9]
	ds_load_b64 v[46:47], v30
	v_add_nc_u64_e32 v[6:7], 0x200, v[6:7]
	v_add_nc_u32_e32 v30, 0x1000, v30
	s_delay_alu instid0(VALU_DEP_2) | instskip(SKIP_3) | instid1(VALU_DEP_1)
	v_cmp_le_i64_e32 vcc_lo, s[8:9], v[6:7]
	s_or_b32 s24, vcc_lo, s24
	s_wait_dscnt 0x0
	v_pk_mul_f32 v[48:49], v[28:29], v[46:47] op_sel:[0,1] op_sel_hi:[1,0]
	v_pk_fma_f32 v[50:51], v[26:27], v[46:47], v[48:49]
	v_pk_fma_f32 v[46:47], v[26:27], v[46:47], v[48:49] neg_lo:[0,0,1] neg_hi:[0,0,1]
	s_delay_alu instid0(VALU_DEP_2) | instskip(SKIP_1) | instid1(VALU_DEP_1)
	v_mov_b32_e32 v47, v51
	s_wait_loadcnt 0x0
	v_pk_add_f32 v[32:33], v[32:33], v[46:47]
	flat_store_b64 v[8:9], v[32:33]
	s_wait_xcnt 0x0
	v_add_nc_u64_e32 v[8:9], 0x1000, v[8:9]
	s_and_not1_b32 exec_lo, exec_lo, s24
	s_cbranch_execnz .LBB33_33
	s_branch .LBB33_7
.LBB33_34:
	s_endpgm
	.section	.rodata,"a",@progbits
	.p2align	6, 0x0
	.amdhsa_kernel _ZN9rocsolver6v33100L22larf_left_kernel_smallILi512E19rocblas_complex_numIfElPKPS3_EEvT1_S7_T2_lS7_lPKT0_lS8_lS7_l
		.amdhsa_group_segment_fixed_size 20480
		.amdhsa_private_segment_fixed_size 0
		.amdhsa_kernarg_size 96
		.amdhsa_user_sgpr_count 2
		.amdhsa_user_sgpr_dispatch_ptr 0
		.amdhsa_user_sgpr_queue_ptr 0
		.amdhsa_user_sgpr_kernarg_segment_ptr 1
		.amdhsa_user_sgpr_dispatch_id 0
		.amdhsa_user_sgpr_kernarg_preload_length 0
		.amdhsa_user_sgpr_kernarg_preload_offset 0
		.amdhsa_user_sgpr_private_segment_size 0
		.amdhsa_wavefront_size32 1
		.amdhsa_uses_dynamic_stack 0
		.amdhsa_enable_private_segment 0
		.amdhsa_system_sgpr_workgroup_id_x 1
		.amdhsa_system_sgpr_workgroup_id_y 1
		.amdhsa_system_sgpr_workgroup_id_z 0
		.amdhsa_system_sgpr_workgroup_info 0
		.amdhsa_system_vgpr_workitem_id 0
		.amdhsa_next_free_vgpr 56
		.amdhsa_next_free_sgpr 28
		.amdhsa_named_barrier_count 0
		.amdhsa_reserve_vcc 1
		.amdhsa_float_round_mode_32 0
		.amdhsa_float_round_mode_16_64 0
		.amdhsa_float_denorm_mode_32 3
		.amdhsa_float_denorm_mode_16_64 3
		.amdhsa_fp16_overflow 0
		.amdhsa_memory_ordered 1
		.amdhsa_forward_progress 1
		.amdhsa_inst_pref_size 18
		.amdhsa_round_robin_scheduling 0
		.amdhsa_exception_fp_ieee_invalid_op 0
		.amdhsa_exception_fp_denorm_src 0
		.amdhsa_exception_fp_ieee_div_zero 0
		.amdhsa_exception_fp_ieee_overflow 0
		.amdhsa_exception_fp_ieee_underflow 0
		.amdhsa_exception_fp_ieee_inexact 0
		.amdhsa_exception_int_div_zero 0
	.end_amdhsa_kernel
	.section	.text._ZN9rocsolver6v33100L22larf_left_kernel_smallILi512E19rocblas_complex_numIfElPKPS3_EEvT1_S7_T2_lS7_lPKT0_lS8_lS7_l,"axG",@progbits,_ZN9rocsolver6v33100L22larf_left_kernel_smallILi512E19rocblas_complex_numIfElPKPS3_EEvT1_S7_T2_lS7_lPKT0_lS8_lS7_l,comdat
.Lfunc_end33:
	.size	_ZN9rocsolver6v33100L22larf_left_kernel_smallILi512E19rocblas_complex_numIfElPKPS3_EEvT1_S7_T2_lS7_lPKT0_lS8_lS7_l, .Lfunc_end33-_ZN9rocsolver6v33100L22larf_left_kernel_smallILi512E19rocblas_complex_numIfElPKPS3_EEvT1_S7_T2_lS7_lPKT0_lS8_lS7_l
                                        ; -- End function
	.set _ZN9rocsolver6v33100L22larf_left_kernel_smallILi512E19rocblas_complex_numIfElPKPS3_EEvT1_S7_T2_lS7_lPKT0_lS8_lS7_l.num_vgpr, 56
	.set _ZN9rocsolver6v33100L22larf_left_kernel_smallILi512E19rocblas_complex_numIfElPKPS3_EEvT1_S7_T2_lS7_lPKT0_lS8_lS7_l.num_agpr, 0
	.set _ZN9rocsolver6v33100L22larf_left_kernel_smallILi512E19rocblas_complex_numIfElPKPS3_EEvT1_S7_T2_lS7_lPKT0_lS8_lS7_l.numbered_sgpr, 28
	.set _ZN9rocsolver6v33100L22larf_left_kernel_smallILi512E19rocblas_complex_numIfElPKPS3_EEvT1_S7_T2_lS7_lPKT0_lS8_lS7_l.num_named_barrier, 0
	.set _ZN9rocsolver6v33100L22larf_left_kernel_smallILi512E19rocblas_complex_numIfElPKPS3_EEvT1_S7_T2_lS7_lPKT0_lS8_lS7_l.private_seg_size, 0
	.set _ZN9rocsolver6v33100L22larf_left_kernel_smallILi512E19rocblas_complex_numIfElPKPS3_EEvT1_S7_T2_lS7_lPKT0_lS8_lS7_l.uses_vcc, 1
	.set _ZN9rocsolver6v33100L22larf_left_kernel_smallILi512E19rocblas_complex_numIfElPKPS3_EEvT1_S7_T2_lS7_lPKT0_lS8_lS7_l.uses_flat_scratch, 1
	.set _ZN9rocsolver6v33100L22larf_left_kernel_smallILi512E19rocblas_complex_numIfElPKPS3_EEvT1_S7_T2_lS7_lPKT0_lS8_lS7_l.has_dyn_sized_stack, 0
	.set _ZN9rocsolver6v33100L22larf_left_kernel_smallILi512E19rocblas_complex_numIfElPKPS3_EEvT1_S7_T2_lS7_lPKT0_lS8_lS7_l.has_recursion, 0
	.set _ZN9rocsolver6v33100L22larf_left_kernel_smallILi512E19rocblas_complex_numIfElPKPS3_EEvT1_S7_T2_lS7_lPKT0_lS8_lS7_l.has_indirect_call, 0
	.section	.AMDGPU.csdata,"",@progbits
; Kernel info:
; codeLenInByte = 2220
; TotalNumSgprs: 30
; NumVgprs: 56
; ScratchSize: 0
; MemoryBound: 0
; FloatMode: 240
; IeeeMode: 1
; LDSByteSize: 20480 bytes/workgroup (compile time only)
; SGPRBlocks: 0
; VGPRBlocks: 3
; NumSGPRsForWavesPerEU: 30
; NumVGPRsForWavesPerEU: 56
; NamedBarCnt: 0
; Occupancy: 16
; WaveLimiterHint : 1
; COMPUTE_PGM_RSRC2:SCRATCH_EN: 0
; COMPUTE_PGM_RSRC2:USER_SGPR: 2
; COMPUTE_PGM_RSRC2:TRAP_HANDLER: 0
; COMPUTE_PGM_RSRC2:TGID_X_EN: 1
; COMPUTE_PGM_RSRC2:TGID_Y_EN: 1
; COMPUTE_PGM_RSRC2:TGID_Z_EN: 0
; COMPUTE_PGM_RSRC2:TIDIG_COMP_CNT: 0
	.section	.text._ZN9rocsolver6v33100L22larf_left_kernel_smallILi1024E19rocblas_complex_numIfElPKPS3_EEvT1_S7_T2_lS7_lPKT0_lS8_lS7_l,"axG",@progbits,_ZN9rocsolver6v33100L22larf_left_kernel_smallILi1024E19rocblas_complex_numIfElPKPS3_EEvT1_S7_T2_lS7_lPKT0_lS8_lS7_l,comdat
	.globl	_ZN9rocsolver6v33100L22larf_left_kernel_smallILi1024E19rocblas_complex_numIfElPKPS3_EEvT1_S7_T2_lS7_lPKT0_lS8_lS7_l ; -- Begin function _ZN9rocsolver6v33100L22larf_left_kernel_smallILi1024E19rocblas_complex_numIfElPKPS3_EEvT1_S7_T2_lS7_lPKT0_lS8_lS7_l
	.p2align	8
	.type	_ZN9rocsolver6v33100L22larf_left_kernel_smallILi1024E19rocblas_complex_numIfElPKPS3_EEvT1_S7_T2_lS7_lPKT0_lS8_lS7_l,@function
_ZN9rocsolver6v33100L22larf_left_kernel_smallILi1024E19rocblas_complex_numIfElPKPS3_EEvT1_S7_T2_lS7_lPKT0_lS8_lS7_l: ; @_ZN9rocsolver6v33100L22larf_left_kernel_smallILi1024E19rocblas_complex_numIfElPKPS3_EEvT1_S7_T2_lS7_lPKT0_lS8_lS7_l
; %bb.0:
	s_clause 0x3
	s_load_b64 s[6:7], s[0:1], 0x20
	s_load_b256 s[8:15], s[0:1], 0x0
	s_load_b256 s[16:23], s[0:1], 0x30
	s_load_b64 s[24:25], s[0:1], 0x50
	s_wait_xcnt 0x0
	s_bfe_u32 s0, ttmp6, 0x4000c
	s_and_b32 s2, ttmp6, 15
	s_add_co_i32 s0, s0, 1
	s_getreg_b32 s1, hwreg(HW_REG_IB_STS2, 6, 4)
	s_mul_i32 s0, ttmp9, s0
	s_mov_b32 s3, 0
	s_add_co_i32 s2, s2, s0
	s_cmp_eq_u32 s1, 0
	s_mov_b64 s[26:27], 0
	s_cselect_b32 s2, ttmp9, s2
	s_wait_kmcnt 0x0
	v_cmp_gt_i64_e64 s4, s[6:7], 0
	s_and_b32 vcc_lo, exec_lo, s4
	s_cbranch_vccnz .LBB34_2
; %bb.1:
	s_sub_nc_u64 s[4:5], 1, s[8:9]
	s_delay_alu instid0(SALU_CYCLE_1)
	s_mul_u64 s[26:27], s[6:7], s[4:5]
.LBB34_2:
	s_load_b64 s[4:5], s[20:21], s2 offset:0x0 scale_offset
	v_dual_mov_b32 v1, 0 :: v_dual_lshlrev_b32 v30, 3, v0
	s_delay_alu instid0(VALU_DEP_1)
	v_cmp_gt_i64_e64 s0, s[8:9], v[0:1]
	s_wait_xcnt 0x0
	s_and_saveexec_b32 s20, s0
	s_cbranch_execz .LBB34_5
; %bb.3:
	v_mul_u64_e32 v[2:3], s[6:7], v[0:1]
	s_load_b64 s[12:13], s[12:13], s2 offset:0x0 scale_offset
	s_lshl_b64 s[14:15], s[14:15], 3
	s_lshl_b64 s[26:27], s[26:27], 3
	v_mov_b64_e32 v[4:5], v[0:1]
	v_lshlrev_b32_e32 v6, 3, v0
	s_lshl_b64 s[6:7], s[6:7], 13
	s_wait_kmcnt 0x0
	s_add_nc_u64 s[12:13], s[12:13], s[14:15]
	s_delay_alu instid0(SALU_CYCLE_1)
	s_add_nc_u64 s[12:13], s[12:13], s[26:27]
	s_delay_alu instid0(VALU_DEP_3) | instid1(SALU_CYCLE_1)
	v_lshl_add_u64 v[2:3], v[2:3], 3, s[12:13]
	s_mov_b32 s12, 0
.LBB34_4:                               ; =>This Inner Loop Header: Depth=1
	flat_load_b64 v[8:9], v[2:3]
	v_add_nc_u64_e32 v[4:5], 0x400, v[4:5]
	s_wait_xcnt 0x0
	v_add_nc_u64_e32 v[2:3], s[6:7], v[2:3]
	s_delay_alu instid0(VALU_DEP_2)
	v_cmp_le_i64_e32 vcc_lo, s[8:9], v[4:5]
	s_or_b32 s12, vcc_lo, s12
	s_wait_loadcnt_dscnt 0x0
	ds_store_b64 v6, v[8:9]
	v_add_nc_u32_e32 v6, 0x2000, v6
	s_and_not1_b32 exec_lo, exec_lo, s12
	s_cbranch_execnz .LBB34_4
.LBB34_5:
	s_or_b32 exec_lo, exec_lo, s20
	s_bfe_u32 s6, ttmp6, 0x40010
	s_bfe_u32 s7, ttmp6, 0x40004
	s_add_co_i32 s6, s6, 1
	s_wait_dscnt 0x0
	s_mul_i32 s6, ttmp7, s6
	s_barrier_signal -1
	s_add_co_i32 s6, s7, s6
	s_cmp_eq_u32 s1, 0
	s_mov_b32 s7, 0
	s_cselect_b32 s6, ttmp7, s6
	s_barrier_wait -1
	v_cmp_le_i64_e64 s1, s[10:11], s[6:7]
	s_and_b32 vcc_lo, exec_lo, s1
	s_cbranch_vccnz .LBB34_34
; %bb.6:
	v_dual_mov_b32 v3, -1 :: v_dual_lshrrev_b32 v22, 2, v0
	v_not_b32_e32 v2, v0
	s_mul_u64 s[12:13], s[18:19], s[2:3]
	s_mul_u64 s[14:15], s[24:25], s[6:7]
	s_lshl_b64 s[12:13], s[12:13], 3
	s_add_nc_u64 s[20:21], s[14:15], s[22:23]
	v_add_nc_u64_e32 v[4:5], s[8:9], v[2:3]
	s_cmp_gt_i32 s8, 1
	s_add_nc_u64 s[12:13], s[16:17], s[12:13]
	v_add_nc_u64_e32 v[16:17], s[20:21], v[0:1]
	s_cselect_b32 s20, -1, 0
	s_lshl_b64 s[14:15], s[14:15], 3
	s_lshl_b64 s[16:17], s[22:23], 3
	v_lshrrev_b64 v[6:7], 10, v[4:5]
	v_dual_lshlrev_b32 v8, 3, v0 :: v_dual_bitop2_b32 v3, 31, v0 bitop3:0x40
	s_add_nc_u64 s[14:15], s[14:15], s[16:17]
	v_lshlrev_b64_e32 v[12:13], 3, v[4:5]
	s_wait_kmcnt 0x0
	s_add_nc_u64 s[14:15], s[4:5], s[14:15]
	s_mov_b64 s[18:19], 0x1fffffffffffffff
	v_add_nc_u64_e32 v[6:7], 1, v[6:7]
	v_mov_b32_e32 v9, 0
	v_mbcnt_lo_u32_b32 v31, -1, 0
	v_cmp_lt_u64_e32 vcc_lo, s[18:19], v[4:5]
	v_lshl_add_u64 v[16:17], v[16:17], 3, s[4:5]
	v_cmp_gt_u64_e64 s21, 0xc00, v[4:5]
	v_cmp_lt_u64_e64 s4, 0xbff, v[4:5]
	v_dual_mov_b32 v11, v7 :: v_dual_bitop2_b32 v10, -2, v6 bitop3:0x40
	v_add_nc_u64_e32 v[18:19], s[14:15], v[8:9]
	v_cmp_gt_i32_e64 s1, s8, v0
	v_cmp_eq_u32_e64 s2, 0, v0
	v_or_b32_e32 v2, 0x400, v0
	v_lshlrev_b64_e32 v[14:15], 10, v[10:11]
	v_cmp_eq_u32_e64 s3, 0, v3
	v_and_b32_e32 v12, 0xffffe000, v12
	v_add_nc_u64_e32 v[20:21], 0x2004, v[18:19]
	v_dual_mov_b32 v3, v1 :: v_dual_mov_b32 v34, 0x4008
	v_lshl_or_b32 v32, v31, 2, 64
	v_or_b32_e32 v14, v14, v0
	v_cmp_ne_u64_e64 s5, v[6:7], v[10:11]
	v_or_b32_e32 v33, 0x4000, v22
	v_mov_b32_e32 v35, 0x4018
	v_mov_b32_e32 v36, 0x4028
	;; [unrolled: 1-line block ×14, first 2 shown]
	s_lshl_b64 s[16:17], s[24:25], 9
	s_mov_b64 s[18:19], 0
	s_xor_b32 s22, vcc_lo, -1
	s_branch .LBB34_8
.LBB34_7:                               ;   in Loop: Header=BB34_8 Depth=1
	s_or_b32 exec_lo, exec_lo, s23
	s_add_nc_u64 s[6:7], s[6:7], 64
	v_add_nc_u64_e32 v[18:19], s[16:17], v[18:19]
	v_cmp_ge_i64_e64 s23, s[6:7], s[10:11]
	v_add_nc_u64_e32 v[20:21], s[16:17], v[20:21]
	s_add_nc_u64 s[18:19], s[18:19], 1
	s_add_nc_u64 s[14:15], s[14:15], s[16:17]
	s_and_b32 vcc_lo, exec_lo, s23
	s_cbranch_vccnz .LBB34_34
.LBB34_8:                               ; =>This Loop Header: Depth=1
                                        ;     Child Loop BB34_10 Depth 2
                                        ;     Child Loop BB34_26 Depth 2
                                        ;     Child Loop BB34_33 Depth 2
	v_mov_b64_e32 v[4:5], 0
	s_and_saveexec_b32 s23, s1
	s_cbranch_execz .LBB34_12
; %bb.9:                                ;   in Loop: Header=BB34_8 Depth=1
	v_dual_mov_b32 v4, 0 :: v_dual_mov_b32 v22, v30
	v_mov_b64_e32 v[6:7], v[18:19]
	v_mov_b32_e32 v23, v0
	s_mov_b32 s24, 0
	s_delay_alu instid0(VALU_DEP_3)
	v_mov_b32_e32 v5, v4
.LBB34_10:                              ;   Parent Loop BB34_8 Depth=1
                                        ; =>  This Inner Loop Header: Depth=2
	flat_load_b64 v[24:25], v[6:7]
	ds_load_b64 v[26:27], v22
	s_wait_xcnt 0x0
	v_add_nc_u64_e32 v[6:7], 0x2000, v[6:7]
	v_add_nc_u32_e32 v23, 0x400, v23
	v_add_nc_u32_e32 v22, 0x2000, v22
	s_delay_alu instid0(VALU_DEP_2)
	v_cmp_le_i32_e32 vcc_lo, s8, v23
	s_or_b32 s24, vcc_lo, s24
	s_wait_dscnt 0x0
	v_mov_b32_e32 v50, v27
	s_wait_loadcnt 0x0
	v_pk_mul_f32 v[28:29], v[24:25], v[26:27] op_sel_hi:[1,0]
	s_delay_alu instid0(VALU_DEP_1) | instskip(NEXT) | instid1(VALU_DEP_3)
	v_pk_fma_f32 v[26:27], v[24:25], v[26:27], v[28:29] op_sel:[1,1,0] op_sel_hi:[0,1,1] neg_lo:[0,0,1] neg_hi:[0,0,1]
	v_pk_fma_f32 v[24:25], v[24:25], v[50:51], v[28:29] op_sel:[1,0,0] op_sel_hi:[0,1,1]
	s_delay_alu instid0(VALU_DEP_2) | instskip(NEXT) | instid1(VALU_DEP_1)
	v_mov_b32_e32 v25, v27
	v_pk_add_f32 v[4:5], v[4:5], v[24:25]
	s_and_not1_b32 exec_lo, exec_lo, s24
	s_cbranch_execnz .LBB34_10
; %bb.11:                               ;   in Loop: Header=BB34_8 Depth=1
	s_or_b32 exec_lo, exec_lo, s24
.LBB34_12:                              ;   in Loop: Header=BB34_8 Depth=1
	s_delay_alu instid0(SALU_CYCLE_1) | instskip(NEXT) | instid1(SALU_CYCLE_1)
	s_or_b32 exec_lo, exec_lo, s23
	s_and_b32 vcc_lo, exec_lo, s20
	s_cbranch_vccz .LBB34_19
; %bb.13:                               ;   in Loop: Header=BB34_8 Depth=1
	v_cmp_ne_u32_e32 vcc_lo, 31, v31
	v_add_co_ci_u32_e64 v6, null, 0, v31, vcc_lo
	v_cmp_gt_u32_e32 vcc_lo, 30, v31
	s_delay_alu instid0(VALU_DEP_2)
	v_lshlrev_b32_e32 v7, 2, v6
	v_cndmask_b32_e64 v22, 0, 2, vcc_lo
	v_cmp_gt_u32_e32 vcc_lo, 28, v31
	ds_bpermute_b32 v6, v7, v4
	ds_bpermute_b32 v7, v7, v5
	v_add_lshl_u32 v23, v22, v31, 2
	v_cndmask_b32_e64 v24, 0, 4, vcc_lo
	v_cmp_gt_u32_e32 vcc_lo, 24, v31
	s_delay_alu instid0(VALU_DEP_2)
	v_add_lshl_u32 v24, v24, v31, 2
	s_wait_dscnt 0x0
	v_pk_add_f32 v[6:7], v[4:5], v[6:7]
	ds_bpermute_b32 v22, v23, v6
	ds_bpermute_b32 v23, v23, v7
	s_wait_dscnt 0x0
	v_pk_add_f32 v[6:7], v[6:7], v[22:23]
	ds_bpermute_b32 v22, v24, v6
	ds_bpermute_b32 v23, v24, v7
	v_cndmask_b32_e64 v24, 0, 8, vcc_lo
	s_delay_alu instid0(VALU_DEP_1)
	v_add_lshl_u32 v24, v24, v31, 2
	s_wait_dscnt 0x0
	v_pk_add_f32 v[6:7], v[6:7], v[22:23]
	ds_bpermute_b32 v22, v24, v6
	ds_bpermute_b32 v23, v24, v7
	s_wait_dscnt 0x0
	v_pk_add_f32 v[6:7], v[6:7], v[22:23]
	ds_bpermute_b32 v22, v32, v6
	ds_bpermute_b32 v23, v32, v7
	s_wait_dscnt 0x0
	v_pk_add_f32 v[6:7], v[6:7], v[22:23]
	s_and_saveexec_b32 s23, s3
; %bb.14:                               ;   in Loop: Header=BB34_8 Depth=1
	ds_store_2addr_b32 v33, v6, v7 offset1:1
; %bb.15:                               ;   in Loop: Header=BB34_8 Depth=1
	s_or_b32 exec_lo, exec_lo, s23
	s_mov_b32 s24, 0
	s_mov_b32 s23, 0
	s_wait_dscnt 0x0
	s_barrier_signal -1
	s_barrier_wait -1
                                        ; implicit-def: $vgpr22_vgpr23
	s_and_saveexec_b32 s25, s2
	s_delay_alu instid0(SALU_CYCLE_1)
	s_xor_b32 s25, exec_lo, s25
	s_cbranch_execz .LBB34_17
; %bb.16:                               ;   in Loop: Header=BB34_8 Depth=1
	ds_load_2addr_b64 v[22:25], v34 offset1:1
	ds_load_2addr_b64 v[26:29], v35 offset1:1
	;; [unrolled: 1-line block ×3, first 2 shown]
	s_mov_b32 s23, exec_lo
	s_wait_dscnt 0x2
	v_pk_add_f32 v[6:7], v[6:7], v[22:23]
	s_delay_alu instid0(VALU_DEP_1) | instskip(SKIP_3) | instid1(VALU_DEP_1)
	v_pk_add_f32 v[6:7], v[6:7], v[24:25]
	ds_load_2addr_b64 v[22:25], v37 offset1:1
	s_wait_dscnt 0x2
	v_pk_add_f32 v[6:7], v[6:7], v[26:27]
	v_pk_add_f32 v[6:7], v[6:7], v[28:29]
	ds_load_2addr_b64 v[26:29], v38 offset1:1
	s_wait_dscnt 0x2
	v_pk_add_f32 v[6:7], v[6:7], v[50:51]
	s_delay_alu instid0(VALU_DEP_1) | instskip(SKIP_3) | instid1(VALU_DEP_1)
	v_pk_add_f32 v[6:7], v[6:7], v[52:53]
	ds_load_2addr_b64 v[50:53], v39 offset1:1
	s_wait_dscnt 0x2
	v_pk_add_f32 v[6:7], v[6:7], v[22:23]
	v_pk_add_f32 v[6:7], v[6:7], v[24:25]
	ds_load_2addr_b64 v[22:25], v40 offset1:1
	;; [unrolled: 9-line block ×6, first 2 shown]
	s_wait_dscnt 0x2
	v_pk_add_f32 v[6:7], v[6:7], v[22:23]
	ds_load_b64 v[22:23], v9 offset:16632
	v_pk_add_f32 v[6:7], v[6:7], v[24:25]
	s_wait_dscnt 0x2
	s_delay_alu instid0(VALU_DEP_1) | instskip(NEXT) | instid1(VALU_DEP_1)
	v_pk_add_f32 v[6:7], v[6:7], v[26:27]
	v_pk_add_f32 v[6:7], v[6:7], v[28:29]
	s_wait_dscnt 0x1
	s_delay_alu instid0(VALU_DEP_1) | instskip(NEXT) | instid1(VALU_DEP_1)
	v_pk_add_f32 v[6:7], v[6:7], v[50:51]
	v_pk_add_f32 v[6:7], v[6:7], v[52:53]
	s_wait_dscnt 0x0
	s_delay_alu instid0(VALU_DEP_1)
	v_pk_add_f32 v[22:23], v[6:7], v[22:23]
.LBB34_17:                              ;   in Loop: Header=BB34_8 Depth=1
	s_or_b32 exec_lo, exec_lo, s25
	s_delay_alu instid0(SALU_CYCLE_1)
	s_and_b32 vcc_lo, exec_lo, s24
	s_cbranch_vccnz .LBB34_20
.LBB34_18:                              ;   in Loop: Header=BB34_8 Depth=1
	s_delay_alu instid0(VALU_DEP_1)
	v_mov_b64_e32 v[4:5], v[22:23]
	s_and_saveexec_b32 s24, s23
	s_cbranch_execnz .LBB34_21
	s_branch .LBB34_22
.LBB34_19:                              ;   in Loop: Header=BB34_8 Depth=1
	s_mov_b32 s23, 0
                                        ; implicit-def: $vgpr22_vgpr23
	s_cbranch_execz .LBB34_18
.LBB34_20:                              ;   in Loop: Header=BB34_8 Depth=1
	s_and_not1_b32 s23, s23, exec_lo
	s_and_b32 s24, s2, exec_lo
	s_delay_alu instid0(SALU_CYCLE_1) | instskip(NEXT) | instid1(SALU_CYCLE_1)
	s_or_b32 s23, s23, s24
	s_and_saveexec_b32 s24, s23
.LBB34_21:                              ;   in Loop: Header=BB34_8 Depth=1
	ds_store_b64 v9, v[4:5] offset:16384
.LBB34_22:                              ;   in Loop: Header=BB34_8 Depth=1
	s_or_b32 exec_lo, exec_lo, s24
	s_wait_dscnt 0x0
	s_barrier_signal -1
	s_barrier_wait -1
	s_and_saveexec_b32 s23, s0
	s_cbranch_execz .LBB34_7
; %bb.23:                               ;   in Loop: Header=BB34_8 Depth=1
	global_load_b64 v[6:7], v9, s[12:13]
	ds_load_b64 v[26:27], v9 offset:16384
	s_mov_b32 s25, s21
	s_wait_loadcnt_dscnt 0x0
	v_dual_mul_f32 v4, v7, v27 :: v_dual_mul_f32 v5, v7, v26
	v_xor_b32_e32 v7, 0x80000000, v6
	s_delay_alu instid0(VALU_DEP_2) | instskip(NEXT) | instid1(VALU_DEP_3)
	v_xor_b32_e32 v22, 0x80000000, v4
	v_xor_b32_e32 v24, 0x80000000, v5
	v_mov_b64_e32 v[4:5], v[0:1]
	s_delay_alu instid0(VALU_DEP_3) | instskip(NEXT) | instid1(VALU_DEP_3)
	v_fmac_f32_e32 v22, v26, v7
	v_fmac_f32_e32 v24, v6, v27
	v_mov_b64_e32 v[6:7], v[8:9]
	s_wait_xcnt 0x0
	s_and_saveexec_b32 s24, s4
	s_cbranch_execz .LBB34_31
; %bb.24:                               ;   in Loop: Header=BB34_8 Depth=1
	v_mad_nc_u64_u32 v[4:5], s16, s18, v[16:17]
	s_mul_i32 s25, s17, s18
	s_mul_i32 s26, s16, s19
	s_delay_alu instid0(VALU_DEP_1) | instid1(SALU_CYCLE_1)
	v_add3_u32 v5, s26, s25, v5
	s_mov_b32 s26, -1
	s_delay_alu instid0(VALU_DEP_1) | instskip(NEXT) | instid1(VALU_DEP_1)
	v_add_nc_u64_e32 v[6:7], v[4:5], v[12:13]
	v_cmp_ge_u64_e32 vcc_lo, v[6:7], v[4:5]
	v_mov_b64_e32 v[4:5], v[0:1]
	v_mov_b64_e32 v[6:7], v[8:9]
	s_and_b32 s27, vcc_lo, s22
	s_delay_alu instid0(SALU_CYCLE_1)
	s_and_saveexec_b32 s25, s27
	s_cbranch_execz .LBB34_30
; %bb.25:                               ;   in Loop: Header=BB34_8 Depth=1
	v_mov_b64_e32 v[6:7], v[2:3]
	v_mov_b64_e32 v[26:27], v[10:11]
	;; [unrolled: 1-line block ×4, first 2 shown]
	v_dual_mov_b32 v23, v22 :: v_dual_mov_b32 v25, v24
	s_mov_b32 s26, 0
.LBB34_26:                              ;   Parent Loop BB34_8 Depth=1
                                        ; =>  This Inner Loop Header: Depth=2
	s_clause 0x1
	flat_load_b64 v[50:51], v[28:29] offset:-8196
	flat_load_b64 v[52:53], v[28:29] offset:-4
	v_dual_lshlrev_b32 v49, 3, v6 :: v_dual_lshlrev_b32 v56, 3, v4
	v_add_nc_u64_e32 v[26:27], -2, v[26:27]
	v_add_nc_u64_e32 v[6:7], 0x800, v[6:7]
	ds_load_b64 v[54:55], v49
	ds_load_b64 v[56:57], v56
	v_add_nc_u64_e32 v[4:5], 0x800, v[4:5]
	v_cmp_eq_u64_e32 vcc_lo, 0, v[26:27]
	s_or_b32 s26, vcc_lo, s26
	s_wait_dscnt 0x0
	v_dual_mov_b32 v59, v54 :: v_dual_mov_b32 v54, v57
	v_mov_b32_e32 v58, v56
	s_delay_alu instid0(VALU_DEP_2) | instskip(SKIP_1) | instid1(VALU_DEP_2)
	v_pk_mul_f32 v[56:57], v[24:25], v[54:55]
	v_pk_mul_f32 v[54:55], v[22:23], v[54:55]
	v_pk_fma_f32 v[56:57], v[22:23], v[58:59], v[56:57] neg_lo:[0,0,1] neg_hi:[0,0,1]
	s_delay_alu instid0(VALU_DEP_2) | instskip(SKIP_3) | instid1(VALU_DEP_2)
	v_pk_fma_f32 v[54:55], v[24:25], v[58:59], v[54:55]
	s_wait_loadcnt 0x0
	v_dual_mov_b32 v58, v50 :: v_dual_mov_b32 v59, v52
	v_mov_b32_e32 v52, v51
	v_pk_add_f32 v[50:51], v[58:59], v[56:57]
	s_delay_alu instid0(VALU_DEP_2) | instskip(NEXT) | instid1(VALU_DEP_1)
	v_pk_add_f32 v[52:53], v[54:55], v[52:53]
	v_dual_mov_b32 v54, v50 :: v_dual_mov_b32 v55, v52
	s_delay_alu instid0(VALU_DEP_3)
	v_mov_b32_e32 v52, v51
	s_clause 0x1
	flat_store_b64 v[28:29], v[54:55] offset:-8196
	flat_store_b64 v[28:29], v[52:53] offset:-4
	s_wait_xcnt 0x0
	v_add_nc_u64_e32 v[28:29], 0x4000, v[28:29]
	s_and_not1_b32 exec_lo, exec_lo, s26
	s_cbranch_execnz .LBB34_26
; %bb.27:                               ;   in Loop: Header=BB34_8 Depth=1
	s_or_b32 exec_lo, exec_lo, s26
	s_mov_b32 s26, 0
                                        ; implicit-def: $vgpr6_vgpr7
	s_and_saveexec_b32 s27, s5
; %bb.28:                               ;   in Loop: Header=BB34_8 Depth=1
	v_lshlrev_b64_e32 v[6:7], 3, v[14:15]
	s_mov_b32 s26, exec_lo
; %bb.29:                               ;   in Loop: Header=BB34_8 Depth=1
	s_or_b32 exec_lo, exec_lo, s27
	v_mov_b64_e32 v[4:5], v[14:15]
	s_or_not1_b32 s26, s26, exec_lo
.LBB34_30:                              ;   in Loop: Header=BB34_8 Depth=1
	s_or_b32 exec_lo, exec_lo, s25
	s_delay_alu instid0(SALU_CYCLE_1) | instskip(SKIP_1) | instid1(SALU_CYCLE_1)
	s_and_not1_b32 s25, s21, exec_lo
	s_and_b32 s26, s26, exec_lo
	s_or_b32 s25, s25, s26
.LBB34_31:                              ;   in Loop: Header=BB34_8 Depth=1
	s_or_b32 exec_lo, exec_lo, s24
	s_delay_alu instid0(SALU_CYCLE_1)
	s_and_b32 exec_lo, exec_lo, s25
	s_cbranch_execz .LBB34_7
; %bb.32:                               ;   in Loop: Header=BB34_8 Depth=1
	v_add_nc_u64_e32 v[6:7], s[14:15], v[6:7]
	v_dual_mov_b32 v25, v24 :: v_dual_mov_b32 v23, v22
	v_lshlrev_b32_e32 v26, 3, v4
	s_mov_b32 s24, 0
.LBB34_33:                              ;   Parent Loop BB34_8 Depth=1
                                        ; =>  This Inner Loop Header: Depth=2
	flat_load_b64 v[28:29], v[6:7]
	ds_load_b64 v[50:51], v26
	v_add_nc_u64_e32 v[4:5], 0x400, v[4:5]
	v_add_nc_u32_e32 v26, 0x2000, v26
	s_delay_alu instid0(VALU_DEP_2) | instskip(SKIP_3) | instid1(VALU_DEP_1)
	v_cmp_le_i64_e32 vcc_lo, s[8:9], v[4:5]
	s_or_b32 s24, vcc_lo, s24
	s_wait_dscnt 0x0
	v_pk_mul_f32 v[52:53], v[24:25], v[50:51] op_sel:[0,1] op_sel_hi:[1,0]
	v_pk_fma_f32 v[54:55], v[22:23], v[50:51], v[52:53]
	v_pk_fma_f32 v[50:51], v[22:23], v[50:51], v[52:53] neg_lo:[0,0,1] neg_hi:[0,0,1]
	s_delay_alu instid0(VALU_DEP_2) | instskip(SKIP_1) | instid1(VALU_DEP_1)
	v_mov_b32_e32 v51, v55
	s_wait_loadcnt 0x0
	v_pk_add_f32 v[28:29], v[28:29], v[50:51]
	flat_store_b64 v[6:7], v[28:29]
	s_wait_xcnt 0x0
	v_add_nc_u64_e32 v[6:7], 0x2000, v[6:7]
	s_and_not1_b32 exec_lo, exec_lo, s24
	s_cbranch_execnz .LBB34_33
	s_branch .LBB34_7
.LBB34_34:
	s_endpgm
	.section	.rodata,"a",@progbits
	.p2align	6, 0x0
	.amdhsa_kernel _ZN9rocsolver6v33100L22larf_left_kernel_smallILi1024E19rocblas_complex_numIfElPKPS3_EEvT1_S7_T2_lS7_lPKT0_lS8_lS7_l
		.amdhsa_group_segment_fixed_size 24576
		.amdhsa_private_segment_fixed_size 0
		.amdhsa_kernarg_size 96
		.amdhsa_user_sgpr_count 2
		.amdhsa_user_sgpr_dispatch_ptr 0
		.amdhsa_user_sgpr_queue_ptr 0
		.amdhsa_user_sgpr_kernarg_segment_ptr 1
		.amdhsa_user_sgpr_dispatch_id 0
		.amdhsa_user_sgpr_kernarg_preload_length 0
		.amdhsa_user_sgpr_kernarg_preload_offset 0
		.amdhsa_user_sgpr_private_segment_size 0
		.amdhsa_wavefront_size32 1
		.amdhsa_uses_dynamic_stack 0
		.amdhsa_enable_private_segment 0
		.amdhsa_system_sgpr_workgroup_id_x 1
		.amdhsa_system_sgpr_workgroup_id_y 1
		.amdhsa_system_sgpr_workgroup_id_z 0
		.amdhsa_system_sgpr_workgroup_info 0
		.amdhsa_system_vgpr_workitem_id 0
		.amdhsa_next_free_vgpr 60
		.amdhsa_next_free_sgpr 28
		.amdhsa_named_barrier_count 0
		.amdhsa_reserve_vcc 1
		.amdhsa_float_round_mode_32 0
		.amdhsa_float_round_mode_16_64 0
		.amdhsa_float_denorm_mode_32 3
		.amdhsa_float_denorm_mode_16_64 3
		.amdhsa_fp16_overflow 0
		.amdhsa_memory_ordered 1
		.amdhsa_forward_progress 1
		.amdhsa_inst_pref_size 20
		.amdhsa_round_robin_scheduling 0
		.amdhsa_exception_fp_ieee_invalid_op 0
		.amdhsa_exception_fp_denorm_src 0
		.amdhsa_exception_fp_ieee_div_zero 0
		.amdhsa_exception_fp_ieee_overflow 0
		.amdhsa_exception_fp_ieee_underflow 0
		.amdhsa_exception_fp_ieee_inexact 0
		.amdhsa_exception_int_div_zero 0
	.end_amdhsa_kernel
	.section	.text._ZN9rocsolver6v33100L22larf_left_kernel_smallILi1024E19rocblas_complex_numIfElPKPS3_EEvT1_S7_T2_lS7_lPKT0_lS8_lS7_l,"axG",@progbits,_ZN9rocsolver6v33100L22larf_left_kernel_smallILi1024E19rocblas_complex_numIfElPKPS3_EEvT1_S7_T2_lS7_lPKT0_lS8_lS7_l,comdat
.Lfunc_end34:
	.size	_ZN9rocsolver6v33100L22larf_left_kernel_smallILi1024E19rocblas_complex_numIfElPKPS3_EEvT1_S7_T2_lS7_lPKT0_lS8_lS7_l, .Lfunc_end34-_ZN9rocsolver6v33100L22larf_left_kernel_smallILi1024E19rocblas_complex_numIfElPKPS3_EEvT1_S7_T2_lS7_lPKT0_lS8_lS7_l
                                        ; -- End function
	.set _ZN9rocsolver6v33100L22larf_left_kernel_smallILi1024E19rocblas_complex_numIfElPKPS3_EEvT1_S7_T2_lS7_lPKT0_lS8_lS7_l.num_vgpr, 60
	.set _ZN9rocsolver6v33100L22larf_left_kernel_smallILi1024E19rocblas_complex_numIfElPKPS3_EEvT1_S7_T2_lS7_lPKT0_lS8_lS7_l.num_agpr, 0
	.set _ZN9rocsolver6v33100L22larf_left_kernel_smallILi1024E19rocblas_complex_numIfElPKPS3_EEvT1_S7_T2_lS7_lPKT0_lS8_lS7_l.numbered_sgpr, 28
	.set _ZN9rocsolver6v33100L22larf_left_kernel_smallILi1024E19rocblas_complex_numIfElPKPS3_EEvT1_S7_T2_lS7_lPKT0_lS8_lS7_l.num_named_barrier, 0
	.set _ZN9rocsolver6v33100L22larf_left_kernel_smallILi1024E19rocblas_complex_numIfElPKPS3_EEvT1_S7_T2_lS7_lPKT0_lS8_lS7_l.private_seg_size, 0
	.set _ZN9rocsolver6v33100L22larf_left_kernel_smallILi1024E19rocblas_complex_numIfElPKPS3_EEvT1_S7_T2_lS7_lPKT0_lS8_lS7_l.uses_vcc, 1
	.set _ZN9rocsolver6v33100L22larf_left_kernel_smallILi1024E19rocblas_complex_numIfElPKPS3_EEvT1_S7_T2_lS7_lPKT0_lS8_lS7_l.uses_flat_scratch, 1
	.set _ZN9rocsolver6v33100L22larf_left_kernel_smallILi1024E19rocblas_complex_numIfElPKPS3_EEvT1_S7_T2_lS7_lPKT0_lS8_lS7_l.has_dyn_sized_stack, 0
	.set _ZN9rocsolver6v33100L22larf_left_kernel_smallILi1024E19rocblas_complex_numIfElPKPS3_EEvT1_S7_T2_lS7_lPKT0_lS8_lS7_l.has_recursion, 0
	.set _ZN9rocsolver6v33100L22larf_left_kernel_smallILi1024E19rocblas_complex_numIfElPKPS3_EEvT1_S7_T2_lS7_lPKT0_lS8_lS7_l.has_indirect_call, 0
	.section	.AMDGPU.csdata,"",@progbits
; Kernel info:
; codeLenInByte = 2500
; TotalNumSgprs: 30
; NumVgprs: 60
; ScratchSize: 0
; MemoryBound: 0
; FloatMode: 240
; IeeeMode: 1
; LDSByteSize: 24576 bytes/workgroup (compile time only)
; SGPRBlocks: 0
; VGPRBlocks: 3
; NumSGPRsForWavesPerEU: 30
; NumVGPRsForWavesPerEU: 60
; NamedBarCnt: 0
; Occupancy: 16
; WaveLimiterHint : 1
; COMPUTE_PGM_RSRC2:SCRATCH_EN: 0
; COMPUTE_PGM_RSRC2:USER_SGPR: 2
; COMPUTE_PGM_RSRC2:TRAP_HANDLER: 0
; COMPUTE_PGM_RSRC2:TGID_X_EN: 1
; COMPUTE_PGM_RSRC2:TGID_Y_EN: 1
; COMPUTE_PGM_RSRC2:TGID_Z_EN: 0
; COMPUTE_PGM_RSRC2:TIDIG_COMP_CNT: 0
	.section	.text._ZN9rocsolver6v33100L23larf_right_kernel_smallILi64E19rocblas_complex_numIfElPKPS3_EEvT1_S7_T2_lS7_lPKT0_lS8_lS7_l,"axG",@progbits,_ZN9rocsolver6v33100L23larf_right_kernel_smallILi64E19rocblas_complex_numIfElPKPS3_EEvT1_S7_T2_lS7_lPKT0_lS8_lS7_l,comdat
	.globl	_ZN9rocsolver6v33100L23larf_right_kernel_smallILi64E19rocblas_complex_numIfElPKPS3_EEvT1_S7_T2_lS7_lPKT0_lS8_lS7_l ; -- Begin function _ZN9rocsolver6v33100L23larf_right_kernel_smallILi64E19rocblas_complex_numIfElPKPS3_EEvT1_S7_T2_lS7_lPKT0_lS8_lS7_l
	.p2align	8
	.type	_ZN9rocsolver6v33100L23larf_right_kernel_smallILi64E19rocblas_complex_numIfElPKPS3_EEvT1_S7_T2_lS7_lPKT0_lS8_lS7_l,@function
_ZN9rocsolver6v33100L23larf_right_kernel_smallILi64E19rocblas_complex_numIfElPKPS3_EEvT1_S7_T2_lS7_lPKT0_lS8_lS7_l: ; @_ZN9rocsolver6v33100L23larf_right_kernel_smallILi64E19rocblas_complex_numIfElPKPS3_EEvT1_S7_T2_lS7_lPKT0_lS8_lS7_l
; %bb.0:
	s_clause 0x3
	s_load_b64 s[22:23], s[0:1], 0x20
	s_load_b256 s[4:11], s[0:1], 0x0
	s_load_b256 s[12:19], s[0:1], 0x30
	s_load_b64 s[20:21], s[0:1], 0x50
	s_wait_xcnt 0x0
	s_bfe_u32 s0, ttmp6, 0x4000c
	s_and_b32 s2, ttmp6, 15
	s_add_co_i32 s0, s0, 1
	s_getreg_b32 s1, hwreg(HW_REG_IB_STS2, 6, 4)
	s_mul_i32 s0, ttmp9, s0
	s_mov_b32 s3, 0
	s_add_co_i32 s2, s2, s0
	s_cmp_eq_u32 s1, 0
	s_cselect_b32 s2, ttmp9, s2
	s_wait_kmcnt 0x0
	v_cmp_gt_i64_e64 s24, s[22:23], 0
	s_and_b32 vcc_lo, exec_lo, s24
	s_mov_b64 s[24:25], 0
	s_cbranch_vccnz .LBB35_2
; %bb.1:
	s_sub_nc_u64 s[24:25], 1, s[6:7]
	s_delay_alu instid0(SALU_CYCLE_1)
	s_mul_u64 s[24:25], s[22:23], s[24:25]
.LBB35_2:
	s_load_b64 s[16:17], s[16:17], s2 offset:0x0 scale_offset
	v_dual_mov_b32 v1, 0 :: v_dual_lshlrev_b32 v12, 3, v0
	s_delay_alu instid0(VALU_DEP_1)
	v_cmp_gt_i64_e64 s0, s[6:7], v[0:1]
	s_and_saveexec_b32 s26, s0
	s_cbranch_execz .LBB35_5
; %bb.3:
	v_mul_u64_e32 v[2:3], s[22:23], v[0:1]
	s_load_b64 s[8:9], s[8:9], s2 offset:0x0 scale_offset
	s_lshl_b64 s[10:11], s[10:11], 3
	s_lshl_b64 s[24:25], s[24:25], 3
	v_mov_b64_e32 v[4:5], v[0:1]
	v_lshlrev_b32_e32 v6, 3, v0
	s_wait_kmcnt 0x0
	s_add_nc_u64 s[8:9], s[8:9], s[10:11]
	s_mov_b32 s10, 0
	s_add_nc_u64 s[8:9], s[8:9], s[24:25]
	s_delay_alu instid0(VALU_DEP_3) | instid1(SALU_CYCLE_1)
	v_lshl_add_u64 v[2:3], v[2:3], 3, s[8:9]
	s_lshl_b64 s[8:9], s[22:23], 9
.LBB35_4:                               ; =>This Inner Loop Header: Depth=1
	flat_load_b64 v[8:9], v[2:3]
	v_add_nc_u64_e32 v[4:5], 64, v[4:5]
	s_wait_xcnt 0x0
	v_add_nc_u64_e32 v[2:3], s[8:9], v[2:3]
	s_delay_alu instid0(VALU_DEP_2)
	v_cmp_le_i64_e32 vcc_lo, s[6:7], v[4:5]
	s_or_b32 s10, vcc_lo, s10
	s_wait_loadcnt_dscnt 0x0
	ds_store_b64 v6, v[8:9]
	v_add_nc_u32_e32 v6, 0x200, v6
	s_and_not1_b32 exec_lo, exec_lo, s10
	s_cbranch_execnz .LBB35_4
.LBB35_5:
	s_or_b32 exec_lo, exec_lo, s26
	s_bfe_u32 s8, ttmp6, 0x40010
	s_bfe_u32 s9, ttmp6, 0x40004
	s_add_co_i32 s8, s8, 1
	s_wait_dscnt 0x0
	s_mul_i32 s8, ttmp7, s8
	s_barrier_signal -1
	s_add_co_i32 s8, s9, s8
	s_cmp_eq_u32 s1, 0
	s_mov_b32 s9, 0
	s_cselect_b32 s8, ttmp7, s8
	s_barrier_wait -1
	v_cmp_le_i64_e64 s1, s[4:5], s[8:9]
	s_and_b32 vcc_lo, exec_lo, s1
	s_cbranch_vccnz .LBB35_25
; %bb.6:
	v_mul_u64_e32 v[2:3], s[20:21], v[0:1]
	s_mul_u64 s[10:11], s[14:15], s[2:3]
	s_lshl_b64 s[22:23], s[18:19], 3
	s_lshl_b64 s[14:15], s[10:11], 3
	s_cmp_gt_i32 s6, 1
	v_mul_lo_u32 v13, v0, s20
	s_cselect_b32 s18, -1, 0
	s_lshl_b64 s[24:25], s[8:9], 3
	v_dual_lshrrev_b32 v5, 2, v0 :: v_dual_bitop2_b32 v4, 31, v0 bitop3:0x40
	v_mbcnt_lo_u32_b32 v14, -1, 0
	s_wait_kmcnt 0x0
	s_add_nc_u64 s[10:11], s[16:17], s[22:23]
	s_add_nc_u64 s[16:17], s[16:17], s[24:25]
	v_cmp_gt_i32_e64 s1, s6, v0
	s_add_nc_u64 s[16:17], s[16:17], s[22:23]
	v_cmp_eq_u32_e64 s2, 0, v0
	v_cmp_eq_u32_e64 s3, 0, v4
	v_lshl_or_b32 v15, v14, 2, 64
	v_or_b32_e32 v16, 0x4000, v5
	v_mov_b32_e32 v17, 0
	s_add_nc_u64 s[12:13], s[12:13], s[14:15]
	s_lshl_b32 s19, s20, 6
	s_lshl_b64 s[14:15], s[20:21], 9
	v_lshl_add_u64 v[2:3], v[2:3], 3, s[16:17]
	s_branch .LBB35_8
.LBB35_7:                               ;   in Loop: Header=BB35_8 Depth=1
	s_or_b32 exec_lo, exec_lo, s16
	s_add_nc_u64 s[8:9], s[8:9], 64
	v_add_nc_u64_e32 v[2:3], 0x200, v[2:3]
	v_cmp_ge_i64_e64 s16, s[8:9], s[4:5]
	s_and_b32 vcc_lo, exec_lo, s16
	s_cbranch_vccnz .LBB35_25
.LBB35_8:                               ; =>This Loop Header: Depth=1
                                        ;     Child Loop BB35_10 Depth 2
                                        ;     Child Loop BB35_24 Depth 2
	v_mov_b64_e32 v[4:5], 0
	s_and_saveexec_b32 s20, s1
	s_cbranch_execz .LBB35_12
; %bb.9:                                ;   in Loop: Header=BB35_8 Depth=1
	v_dual_mov_b32 v4, 0 :: v_dual_mov_b32 v6, v13
	v_dual_mov_b32 v7, v12 :: v_dual_mov_b32 v8, v0
	s_lshl_b64 s[16:17], s[8:9], 3
	s_delay_alu instid0(VALU_DEP_2)
	v_mov_b32_e32 v5, v4
	s_add_nc_u64 s[16:17], s[10:11], s[16:17]
	s_mov_b32 s21, 0
.LBB35_10:                              ;   Parent Loop BB35_8 Depth=1
                                        ; =>  This Inner Loop Header: Depth=2
	flat_load_b64 v[10:11], v6, s[16:17] scale_offset
	ds_load_b64 v[18:19], v7
	v_add_nc_u32_e32 v7, 0x200, v7
	s_wait_xcnt 0x0
	v_add_nc_u32_e32 v6, s19, v6
	s_wait_loadcnt_dscnt 0x0
	v_pk_mul_f32 v[20:21], v[10:11], v[18:19] op_sel:[1,1] op_sel_hi:[0,1]
	s_delay_alu instid0(VALU_DEP_1) | instskip(SKIP_2) | instid1(VALU_DEP_3)
	v_pk_fma_f32 v[22:23], v[10:11], v[18:19], v[20:21] op_sel_hi:[1,0,1]
	v_add_nc_u32_e32 v8, 64, v8
	v_pk_fma_f32 v[10:11], v[10:11], v[18:19], v[20:21] neg_lo:[0,0,1] neg_hi:[0,0,1]
	v_mov_b32_e32 v11, v23
	s_delay_alu instid0(VALU_DEP_3) | instskip(NEXT) | instid1(VALU_DEP_2)
	v_cmp_le_i32_e32 vcc_lo, s6, v8
	v_pk_add_f32 v[4:5], v[4:5], v[10:11]
	s_or_b32 s21, vcc_lo, s21
	s_delay_alu instid0(SALU_CYCLE_1)
	s_and_not1_b32 exec_lo, exec_lo, s21
	s_cbranch_execnz .LBB35_10
; %bb.11:                               ;   in Loop: Header=BB35_8 Depth=1
	s_or_b32 exec_lo, exec_lo, s21
.LBB35_12:                              ;   in Loop: Header=BB35_8 Depth=1
	s_delay_alu instid0(SALU_CYCLE_1) | instskip(NEXT) | instid1(SALU_CYCLE_1)
	s_or_b32 exec_lo, exec_lo, s20
	s_and_b32 vcc_lo, exec_lo, s18
	s_cbranch_vccz .LBB35_19
; %bb.13:                               ;   in Loop: Header=BB35_8 Depth=1
	v_cmp_ne_u32_e32 vcc_lo, 31, v14
	v_add_co_ci_u32_e64 v6, null, 0, v14, vcc_lo
	v_cmp_gt_u32_e32 vcc_lo, 30, v14
	s_delay_alu instid0(VALU_DEP_2)
	v_lshlrev_b32_e32 v7, 2, v6
	v_cndmask_b32_e64 v8, 0, 2, vcc_lo
	v_cmp_gt_u32_e32 vcc_lo, 28, v14
	ds_bpermute_b32 v6, v7, v4
	ds_bpermute_b32 v7, v7, v5
	v_add_lshl_u32 v9, v8, v14, 2
	v_cndmask_b32_e64 v10, 0, 4, vcc_lo
	v_cmp_gt_u32_e32 vcc_lo, 24, v14
	s_delay_alu instid0(VALU_DEP_2)
	v_add_lshl_u32 v10, v10, v14, 2
	s_wait_dscnt 0x0
	v_pk_add_f32 v[6:7], v[4:5], v[6:7]
	ds_bpermute_b32 v8, v9, v6
	ds_bpermute_b32 v9, v9, v7
	s_wait_dscnt 0x0
	v_pk_add_f32 v[6:7], v[6:7], v[8:9]
	ds_bpermute_b32 v8, v10, v6
	ds_bpermute_b32 v9, v10, v7
	v_cndmask_b32_e64 v10, 0, 8, vcc_lo
	s_delay_alu instid0(VALU_DEP_1)
	v_add_lshl_u32 v10, v10, v14, 2
	s_wait_dscnt 0x0
	v_pk_add_f32 v[6:7], v[6:7], v[8:9]
	ds_bpermute_b32 v8, v10, v6
	ds_bpermute_b32 v9, v10, v7
	s_wait_dscnt 0x0
	v_pk_add_f32 v[6:7], v[6:7], v[8:9]
	ds_bpermute_b32 v8, v15, v6
	ds_bpermute_b32 v9, v15, v7
	s_wait_dscnt 0x0
	v_pk_add_f32 v[8:9], v[6:7], v[8:9]
	s_and_saveexec_b32 s16, s3
; %bb.14:                               ;   in Loop: Header=BB35_8 Depth=1
	ds_store_2addr_b32 v16, v8, v9 offset1:1
; %bb.15:                               ;   in Loop: Header=BB35_8 Depth=1
	s_or_b32 exec_lo, exec_lo, s16
	s_mov_b32 s17, 0
	s_mov_b32 s16, 0
	s_wait_dscnt 0x0
	s_barrier_signal -1
	s_barrier_wait -1
                                        ; implicit-def: $vgpr6_vgpr7
	s_and_saveexec_b32 s20, s2
	s_delay_alu instid0(SALU_CYCLE_1)
	s_xor_b32 s20, exec_lo, s20
	s_cbranch_execz .LBB35_17
; %bb.16:                               ;   in Loop: Header=BB35_8 Depth=1
	ds_load_b64 v[6:7], v17 offset:16392
	s_mov_b32 s16, exec_lo
	s_wait_dscnt 0x0
	v_pk_add_f32 v[6:7], v[8:9], v[6:7]
.LBB35_17:                              ;   in Loop: Header=BB35_8 Depth=1
	s_or_b32 exec_lo, exec_lo, s20
	s_delay_alu instid0(SALU_CYCLE_1)
	s_and_b32 vcc_lo, exec_lo, s17
	s_cbranch_vccnz .LBB35_20
.LBB35_18:                              ;   in Loop: Header=BB35_8 Depth=1
	s_delay_alu instid0(VALU_DEP_1)
	v_mov_b64_e32 v[4:5], v[6:7]
	s_and_saveexec_b32 s17, s16
	s_cbranch_execnz .LBB35_21
	s_branch .LBB35_22
.LBB35_19:                              ;   in Loop: Header=BB35_8 Depth=1
	s_mov_b32 s16, 0
                                        ; implicit-def: $vgpr6_vgpr7
	s_cbranch_execz .LBB35_18
.LBB35_20:                              ;   in Loop: Header=BB35_8 Depth=1
	s_and_not1_b32 s16, s16, exec_lo
	s_and_b32 s17, s2, exec_lo
	s_delay_alu instid0(SALU_CYCLE_1) | instskip(NEXT) | instid1(SALU_CYCLE_1)
	s_or_b32 s16, s16, s17
	s_and_saveexec_b32 s17, s16
.LBB35_21:                              ;   in Loop: Header=BB35_8 Depth=1
	ds_store_b64 v17, v[4:5] offset:16384
.LBB35_22:                              ;   in Loop: Header=BB35_8 Depth=1
	s_or_b32 exec_lo, exec_lo, s17
	s_wait_dscnt 0x0
	s_barrier_signal -1
	s_barrier_wait -1
	s_and_saveexec_b32 s16, s0
	s_cbranch_execz .LBB35_7
; %bb.23:                               ;   in Loop: Header=BB35_8 Depth=1
	global_load_b64 v[4:5], v17, s[12:13]
	ds_load_b64 v[8:9], v17 offset:16384
	s_mov_b32 s17, 0
	s_wait_loadcnt_dscnt 0x0
	v_dual_mul_f32 v6, v4, v9 :: v_dual_mul_f32 v7, v4, v8
	v_xor_b32_e32 v10, 0x80000000, v5
	s_delay_alu instid0(VALU_DEP_2) | instskip(NEXT) | instid1(VALU_DEP_3)
	v_xor_b32_e32 v4, 0x80000000, v6
	v_xor_b32_e32 v6, 0x80000000, v7
	s_delay_alu instid0(VALU_DEP_1) | instskip(SKIP_2) | instid1(VALU_DEP_3)
	v_dual_fmac_f32 v4, v8, v10 :: v_dual_fmac_f32 v6, v5, v9
	v_mov_b64_e32 v[8:9], v[2:3]
	v_mov_b64_e32 v[10:11], v[0:1]
	v_dual_mov_b32 v18, v12 :: v_dual_mov_b32 v5, v4
	s_delay_alu instid0(VALU_DEP_4)
	v_mov_b32_e32 v7, v6
.LBB35_24:                              ;   Parent Loop BB35_8 Depth=1
                                        ; =>  This Inner Loop Header: Depth=2
	flat_load_b64 v[20:21], v[8:9]
	ds_load_b64 v[22:23], v18
	v_add_nc_u64_e32 v[10:11], 64, v[10:11]
	v_add_nc_u32_e32 v18, 0x200, v18
	s_delay_alu instid0(VALU_DEP_2) | instskip(SKIP_3) | instid1(VALU_DEP_1)
	v_cmp_le_i64_e32 vcc_lo, s[6:7], v[10:11]
	s_or_b32 s17, vcc_lo, s17
	s_wait_dscnt 0x0
	v_pk_mul_f32 v[24:25], v[6:7], v[22:23]
	v_pk_fma_f32 v[26:27], v[4:5], v[22:23], v[24:25] op_sel:[0,1,0] op_sel_hi:[1,0,1] neg_lo:[0,0,1] neg_hi:[0,0,1]
	v_pk_fma_f32 v[22:23], v[4:5], v[22:23], v[24:25] op_sel:[0,1,0] op_sel_hi:[1,0,1]
	s_delay_alu instid0(VALU_DEP_2) | instskip(SKIP_1) | instid1(VALU_DEP_1)
	v_mov_b32_e32 v23, v27
	s_wait_loadcnt 0x0
	v_pk_add_f32 v[20:21], v[20:21], v[22:23]
	flat_store_b64 v[8:9], v[20:21]
	s_wait_xcnt 0x0
	v_add_nc_u64_e32 v[8:9], s[14:15], v[8:9]
	s_and_not1_b32 exec_lo, exec_lo, s17
	s_cbranch_execnz .LBB35_24
	s_branch .LBB35_7
.LBB35_25:
	s_endpgm
	.section	.rodata,"a",@progbits
	.p2align	6, 0x0
	.amdhsa_kernel _ZN9rocsolver6v33100L23larf_right_kernel_smallILi64E19rocblas_complex_numIfElPKPS3_EEvT1_S7_T2_lS7_lPKT0_lS8_lS7_l
		.amdhsa_group_segment_fixed_size 16400
		.amdhsa_private_segment_fixed_size 0
		.amdhsa_kernarg_size 96
		.amdhsa_user_sgpr_count 2
		.amdhsa_user_sgpr_dispatch_ptr 0
		.amdhsa_user_sgpr_queue_ptr 0
		.amdhsa_user_sgpr_kernarg_segment_ptr 1
		.amdhsa_user_sgpr_dispatch_id 0
		.amdhsa_user_sgpr_kernarg_preload_length 0
		.amdhsa_user_sgpr_kernarg_preload_offset 0
		.amdhsa_user_sgpr_private_segment_size 0
		.amdhsa_wavefront_size32 1
		.amdhsa_uses_dynamic_stack 0
		.amdhsa_enable_private_segment 0
		.amdhsa_system_sgpr_workgroup_id_x 1
		.amdhsa_system_sgpr_workgroup_id_y 1
		.amdhsa_system_sgpr_workgroup_id_z 0
		.amdhsa_system_sgpr_workgroup_info 0
		.amdhsa_system_vgpr_workitem_id 0
		.amdhsa_next_free_vgpr 113
		.amdhsa_next_free_sgpr 27
		.amdhsa_named_barrier_count 0
		.amdhsa_reserve_vcc 1
		.amdhsa_float_round_mode_32 0
		.amdhsa_float_round_mode_16_64 0
		.amdhsa_float_denorm_mode_32 3
		.amdhsa_float_denorm_mode_16_64 3
		.amdhsa_fp16_overflow 0
		.amdhsa_memory_ordered 1
		.amdhsa_forward_progress 1
		.amdhsa_inst_pref_size 11
		.amdhsa_round_robin_scheduling 0
		.amdhsa_exception_fp_ieee_invalid_op 0
		.amdhsa_exception_fp_denorm_src 0
		.amdhsa_exception_fp_ieee_div_zero 0
		.amdhsa_exception_fp_ieee_overflow 0
		.amdhsa_exception_fp_ieee_underflow 0
		.amdhsa_exception_fp_ieee_inexact 0
		.amdhsa_exception_int_div_zero 0
	.end_amdhsa_kernel
	.section	.text._ZN9rocsolver6v33100L23larf_right_kernel_smallILi64E19rocblas_complex_numIfElPKPS3_EEvT1_S7_T2_lS7_lPKT0_lS8_lS7_l,"axG",@progbits,_ZN9rocsolver6v33100L23larf_right_kernel_smallILi64E19rocblas_complex_numIfElPKPS3_EEvT1_S7_T2_lS7_lPKT0_lS8_lS7_l,comdat
.Lfunc_end35:
	.size	_ZN9rocsolver6v33100L23larf_right_kernel_smallILi64E19rocblas_complex_numIfElPKPS3_EEvT1_S7_T2_lS7_lPKT0_lS8_lS7_l, .Lfunc_end35-_ZN9rocsolver6v33100L23larf_right_kernel_smallILi64E19rocblas_complex_numIfElPKPS3_EEvT1_S7_T2_lS7_lPKT0_lS8_lS7_l
                                        ; -- End function
	.set _ZN9rocsolver6v33100L23larf_right_kernel_smallILi64E19rocblas_complex_numIfElPKPS3_EEvT1_S7_T2_lS7_lPKT0_lS8_lS7_l.num_vgpr, 28
	.set _ZN9rocsolver6v33100L23larf_right_kernel_smallILi64E19rocblas_complex_numIfElPKPS3_EEvT1_S7_T2_lS7_lPKT0_lS8_lS7_l.num_agpr, 0
	.set _ZN9rocsolver6v33100L23larf_right_kernel_smallILi64E19rocblas_complex_numIfElPKPS3_EEvT1_S7_T2_lS7_lPKT0_lS8_lS7_l.numbered_sgpr, 27
	.set _ZN9rocsolver6v33100L23larf_right_kernel_smallILi64E19rocblas_complex_numIfElPKPS3_EEvT1_S7_T2_lS7_lPKT0_lS8_lS7_l.num_named_barrier, 0
	.set _ZN9rocsolver6v33100L23larf_right_kernel_smallILi64E19rocblas_complex_numIfElPKPS3_EEvT1_S7_T2_lS7_lPKT0_lS8_lS7_l.private_seg_size, 0
	.set _ZN9rocsolver6v33100L23larf_right_kernel_smallILi64E19rocblas_complex_numIfElPKPS3_EEvT1_S7_T2_lS7_lPKT0_lS8_lS7_l.uses_vcc, 1
	.set _ZN9rocsolver6v33100L23larf_right_kernel_smallILi64E19rocblas_complex_numIfElPKPS3_EEvT1_S7_T2_lS7_lPKT0_lS8_lS7_l.uses_flat_scratch, 0
	.set _ZN9rocsolver6v33100L23larf_right_kernel_smallILi64E19rocblas_complex_numIfElPKPS3_EEvT1_S7_T2_lS7_lPKT0_lS8_lS7_l.has_dyn_sized_stack, 0
	.set _ZN9rocsolver6v33100L23larf_right_kernel_smallILi64E19rocblas_complex_numIfElPKPS3_EEvT1_S7_T2_lS7_lPKT0_lS8_lS7_l.has_recursion, 0
	.set _ZN9rocsolver6v33100L23larf_right_kernel_smallILi64E19rocblas_complex_numIfElPKPS3_EEvT1_S7_T2_lS7_lPKT0_lS8_lS7_l.has_indirect_call, 0
	.section	.AMDGPU.csdata,"",@progbits
; Kernel info:
; codeLenInByte = 1332
; TotalNumSgprs: 29
; NumVgprs: 28
; ScratchSize: 0
; MemoryBound: 0
; FloatMode: 240
; IeeeMode: 1
; LDSByteSize: 16400 bytes/workgroup (compile time only)
; SGPRBlocks: 0
; VGPRBlocks: 7
; NumSGPRsForWavesPerEU: 29
; NumVGPRsForWavesPerEU: 113
; NamedBarCnt: 0
; Occupancy: 8
; WaveLimiterHint : 1
; COMPUTE_PGM_RSRC2:SCRATCH_EN: 0
; COMPUTE_PGM_RSRC2:USER_SGPR: 2
; COMPUTE_PGM_RSRC2:TRAP_HANDLER: 0
; COMPUTE_PGM_RSRC2:TGID_X_EN: 1
; COMPUTE_PGM_RSRC2:TGID_Y_EN: 1
; COMPUTE_PGM_RSRC2:TGID_Z_EN: 0
; COMPUTE_PGM_RSRC2:TIDIG_COMP_CNT: 0
	.section	.text._ZN9rocsolver6v33100L23larf_right_kernel_smallILi128E19rocblas_complex_numIfElPKPS3_EEvT1_S7_T2_lS7_lPKT0_lS8_lS7_l,"axG",@progbits,_ZN9rocsolver6v33100L23larf_right_kernel_smallILi128E19rocblas_complex_numIfElPKPS3_EEvT1_S7_T2_lS7_lPKT0_lS8_lS7_l,comdat
	.globl	_ZN9rocsolver6v33100L23larf_right_kernel_smallILi128E19rocblas_complex_numIfElPKPS3_EEvT1_S7_T2_lS7_lPKT0_lS8_lS7_l ; -- Begin function _ZN9rocsolver6v33100L23larf_right_kernel_smallILi128E19rocblas_complex_numIfElPKPS3_EEvT1_S7_T2_lS7_lPKT0_lS8_lS7_l
	.p2align	8
	.type	_ZN9rocsolver6v33100L23larf_right_kernel_smallILi128E19rocblas_complex_numIfElPKPS3_EEvT1_S7_T2_lS7_lPKT0_lS8_lS7_l,@function
_ZN9rocsolver6v33100L23larf_right_kernel_smallILi128E19rocblas_complex_numIfElPKPS3_EEvT1_S7_T2_lS7_lPKT0_lS8_lS7_l: ; @_ZN9rocsolver6v33100L23larf_right_kernel_smallILi128E19rocblas_complex_numIfElPKPS3_EEvT1_S7_T2_lS7_lPKT0_lS8_lS7_l
; %bb.0:
	s_clause 0x3
	s_load_b64 s[22:23], s[0:1], 0x20
	s_load_b256 s[4:11], s[0:1], 0x0
	s_load_b256 s[12:19], s[0:1], 0x30
	s_load_b64 s[20:21], s[0:1], 0x50
	s_wait_xcnt 0x0
	s_bfe_u32 s0, ttmp6, 0x4000c
	s_and_b32 s2, ttmp6, 15
	s_add_co_i32 s0, s0, 1
	s_getreg_b32 s1, hwreg(HW_REG_IB_STS2, 6, 4)
	s_mul_i32 s0, ttmp9, s0
	s_mov_b32 s3, 0
	s_add_co_i32 s2, s2, s0
	s_cmp_eq_u32 s1, 0
	s_cselect_b32 s2, ttmp9, s2
	s_wait_kmcnt 0x0
	v_cmp_gt_i64_e64 s24, s[22:23], 0
	s_and_b32 vcc_lo, exec_lo, s24
	s_mov_b64 s[24:25], 0
	s_cbranch_vccnz .LBB36_2
; %bb.1:
	s_sub_nc_u64 s[24:25], 1, s[6:7]
	s_delay_alu instid0(SALU_CYCLE_1)
	s_mul_u64 s[24:25], s[22:23], s[24:25]
.LBB36_2:
	s_load_b64 s[16:17], s[16:17], s2 offset:0x0 scale_offset
	v_dual_mov_b32 v1, 0 :: v_dual_lshlrev_b32 v12, 3, v0
	s_delay_alu instid0(VALU_DEP_1)
	v_cmp_gt_i64_e64 s0, s[6:7], v[0:1]
	s_and_saveexec_b32 s26, s0
	s_cbranch_execz .LBB36_5
; %bb.3:
	v_mul_u64_e32 v[2:3], s[22:23], v[0:1]
	s_load_b64 s[8:9], s[8:9], s2 offset:0x0 scale_offset
	s_lshl_b64 s[10:11], s[10:11], 3
	s_lshl_b64 s[24:25], s[24:25], 3
	v_mov_b64_e32 v[4:5], v[0:1]
	v_lshlrev_b32_e32 v6, 3, v0
	s_wait_kmcnt 0x0
	s_add_nc_u64 s[8:9], s[8:9], s[10:11]
	s_mov_b32 s10, 0
	s_add_nc_u64 s[8:9], s[8:9], s[24:25]
	s_delay_alu instid0(VALU_DEP_3) | instid1(SALU_CYCLE_1)
	v_lshl_add_u64 v[2:3], v[2:3], 3, s[8:9]
	s_lshl_b64 s[8:9], s[22:23], 10
.LBB36_4:                               ; =>This Inner Loop Header: Depth=1
	flat_load_b64 v[8:9], v[2:3]
	v_add_nc_u64_e32 v[4:5], 0x80, v[4:5]
	s_wait_xcnt 0x0
	v_add_nc_u64_e32 v[2:3], s[8:9], v[2:3]
	s_delay_alu instid0(VALU_DEP_2)
	v_cmp_le_i64_e32 vcc_lo, s[6:7], v[4:5]
	s_or_b32 s10, vcc_lo, s10
	s_wait_loadcnt_dscnt 0x0
	ds_store_b64 v6, v[8:9]
	v_add_nc_u32_e32 v6, 0x400, v6
	s_and_not1_b32 exec_lo, exec_lo, s10
	s_cbranch_execnz .LBB36_4
.LBB36_5:
	s_or_b32 exec_lo, exec_lo, s26
	s_bfe_u32 s8, ttmp6, 0x40010
	s_bfe_u32 s9, ttmp6, 0x40004
	s_add_co_i32 s8, s8, 1
	s_wait_dscnt 0x0
	s_mul_i32 s8, ttmp7, s8
	s_barrier_signal -1
	s_add_co_i32 s8, s9, s8
	s_cmp_eq_u32 s1, 0
	s_mov_b32 s9, 0
	s_cselect_b32 s8, ttmp7, s8
	s_barrier_wait -1
	v_cmp_le_i64_e64 s1, s[4:5], s[8:9]
	s_and_b32 vcc_lo, exec_lo, s1
	s_cbranch_vccnz .LBB36_25
; %bb.6:
	v_mul_u64_e32 v[2:3], s[20:21], v[0:1]
	s_mul_u64 s[10:11], s[14:15], s[2:3]
	s_lshl_b64 s[22:23], s[18:19], 3
	s_lshl_b64 s[14:15], s[10:11], 3
	s_cmp_gt_i32 s6, 1
	v_mul_lo_u32 v13, v0, s20
	s_cselect_b32 s18, -1, 0
	s_lshl_b64 s[24:25], s[8:9], 3
	v_dual_lshrrev_b32 v5, 2, v0 :: v_dual_bitop2_b32 v4, 31, v0 bitop3:0x40
	v_mbcnt_lo_u32_b32 v14, -1, 0
	s_wait_kmcnt 0x0
	s_add_nc_u64 s[10:11], s[16:17], s[22:23]
	s_add_nc_u64 s[16:17], s[16:17], s[24:25]
	v_cmp_gt_i32_e64 s1, s6, v0
	s_add_nc_u64 s[16:17], s[16:17], s[22:23]
	v_cmp_eq_u32_e64 s2, 0, v0
	v_dual_mov_b32 v15, 0x4008 :: v_dual_mov_b32 v18, 0
	v_cmp_eq_u32_e64 s3, 0, v4
	v_lshl_or_b32 v16, v14, 2, 64
	v_or_b32_e32 v17, 0x4000, v5
	s_add_nc_u64 s[12:13], s[12:13], s[14:15]
	s_lshl_b32 s19, s20, 7
	s_lshl_b64 s[14:15], s[20:21], 10
	v_lshl_add_u64 v[2:3], v[2:3], 3, s[16:17]
	s_branch .LBB36_8
.LBB36_7:                               ;   in Loop: Header=BB36_8 Depth=1
	s_or_b32 exec_lo, exec_lo, s16
	s_add_nc_u64 s[8:9], s[8:9], 64
	v_add_nc_u64_e32 v[2:3], 0x200, v[2:3]
	v_cmp_ge_i64_e64 s16, s[8:9], s[4:5]
	s_and_b32 vcc_lo, exec_lo, s16
	s_cbranch_vccnz .LBB36_25
.LBB36_8:                               ; =>This Loop Header: Depth=1
                                        ;     Child Loop BB36_10 Depth 2
                                        ;     Child Loop BB36_24 Depth 2
	v_mov_b64_e32 v[4:5], 0
	s_and_saveexec_b32 s20, s1
	s_cbranch_execz .LBB36_12
; %bb.9:                                ;   in Loop: Header=BB36_8 Depth=1
	v_dual_mov_b32 v5, 0 :: v_dual_mov_b32 v6, v13
	v_dual_mov_b32 v7, v12 :: v_dual_mov_b32 v8, v0
	s_lshl_b64 s[16:17], s[8:9], 3
	s_delay_alu instid0(VALU_DEP_2)
	v_mov_b32_e32 v4, v5
	s_add_nc_u64 s[16:17], s[10:11], s[16:17]
	s_mov_b32 s21, 0
.LBB36_10:                              ;   Parent Loop BB36_8 Depth=1
                                        ; =>  This Inner Loop Header: Depth=2
	flat_load_b64 v[10:11], v6, s[16:17] scale_offset
	ds_load_b64 v[20:21], v7
	v_add_nc_u32_e32 v8, 0x80, v8
	v_add_nc_u32_e32 v7, 0x400, v7
	s_wait_xcnt 0x0
	v_add_nc_u32_e32 v6, s19, v6
	s_delay_alu instid0(VALU_DEP_3) | instskip(SKIP_3) | instid1(VALU_DEP_1)
	v_cmp_le_i32_e32 vcc_lo, s6, v8
	s_or_b32 s21, vcc_lo, s21
	s_wait_loadcnt_dscnt 0x0
	v_dual_mul_f32 v9, v11, v21 :: v_dual_mul_f32 v23, v10, v21
	v_dual_fma_f32 v22, v10, v20, -v9 :: v_dual_fmac_f32 v23, v11, v20
	s_delay_alu instid0(VALU_DEP_1)
	v_pk_add_f32 v[4:5], v[4:5], v[22:23]
	s_and_not1_b32 exec_lo, exec_lo, s21
	s_cbranch_execnz .LBB36_10
; %bb.11:                               ;   in Loop: Header=BB36_8 Depth=1
	s_or_b32 exec_lo, exec_lo, s21
.LBB36_12:                              ;   in Loop: Header=BB36_8 Depth=1
	s_delay_alu instid0(SALU_CYCLE_1) | instskip(NEXT) | instid1(SALU_CYCLE_1)
	s_or_b32 exec_lo, exec_lo, s20
	s_and_b32 vcc_lo, exec_lo, s18
	s_cbranch_vccz .LBB36_19
; %bb.13:                               ;   in Loop: Header=BB36_8 Depth=1
	v_cmp_ne_u32_e32 vcc_lo, 31, v14
	v_add_co_ci_u32_e64 v6, null, 0, v14, vcc_lo
	v_cmp_gt_u32_e32 vcc_lo, 30, v14
	s_delay_alu instid0(VALU_DEP_2)
	v_lshlrev_b32_e32 v7, 2, v6
	v_cndmask_b32_e64 v8, 0, 2, vcc_lo
	v_cmp_gt_u32_e32 vcc_lo, 28, v14
	ds_bpermute_b32 v6, v7, v4
	ds_bpermute_b32 v7, v7, v5
	v_add_lshl_u32 v9, v8, v14, 2
	v_cndmask_b32_e64 v10, 0, 4, vcc_lo
	v_cmp_gt_u32_e32 vcc_lo, 24, v14
	s_delay_alu instid0(VALU_DEP_2)
	v_add_lshl_u32 v10, v10, v14, 2
	s_wait_dscnt 0x0
	v_pk_add_f32 v[6:7], v[4:5], v[6:7]
	ds_bpermute_b32 v8, v9, v6
	ds_bpermute_b32 v9, v9, v7
	s_wait_dscnt 0x0
	v_pk_add_f32 v[6:7], v[6:7], v[8:9]
	ds_bpermute_b32 v8, v10, v6
	ds_bpermute_b32 v9, v10, v7
	v_cndmask_b32_e64 v10, 0, 8, vcc_lo
	s_delay_alu instid0(VALU_DEP_1)
	v_add_lshl_u32 v10, v10, v14, 2
	s_wait_dscnt 0x0
	v_pk_add_f32 v[6:7], v[6:7], v[8:9]
	ds_bpermute_b32 v8, v10, v6
	ds_bpermute_b32 v9, v10, v7
	s_wait_dscnt 0x0
	v_pk_add_f32 v[6:7], v[6:7], v[8:9]
	ds_bpermute_b32 v8, v16, v6
	ds_bpermute_b32 v9, v16, v7
	s_wait_dscnt 0x0
	v_pk_add_f32 v[6:7], v[6:7], v[8:9]
	s_and_saveexec_b32 s16, s3
; %bb.14:                               ;   in Loop: Header=BB36_8 Depth=1
	ds_store_2addr_b32 v17, v6, v7 offset1:1
; %bb.15:                               ;   in Loop: Header=BB36_8 Depth=1
	s_or_b32 exec_lo, exec_lo, s16
	s_mov_b32 s17, 0
	s_mov_b32 s16, 0
	s_wait_dscnt 0x0
	s_barrier_signal -1
	s_barrier_wait -1
                                        ; implicit-def: $vgpr8_vgpr9
	s_and_saveexec_b32 s20, s2
	s_delay_alu instid0(SALU_CYCLE_1)
	s_xor_b32 s20, exec_lo, s20
	s_cbranch_execz .LBB36_17
; %bb.16:                               ;   in Loop: Header=BB36_8 Depth=1
	ds_load_2addr_b64 v[8:11], v15 offset1:1
	ds_load_b64 v[20:21], v18 offset:16408
	s_mov_b32 s16, exec_lo
	s_wait_dscnt 0x1
	v_pk_add_f32 v[6:7], v[6:7], v[8:9]
	s_delay_alu instid0(VALU_DEP_1) | instskip(SKIP_1) | instid1(VALU_DEP_1)
	v_pk_add_f32 v[6:7], v[6:7], v[10:11]
	s_wait_dscnt 0x0
	v_pk_add_f32 v[8:9], v[6:7], v[20:21]
.LBB36_17:                              ;   in Loop: Header=BB36_8 Depth=1
	s_or_b32 exec_lo, exec_lo, s20
	s_delay_alu instid0(SALU_CYCLE_1)
	s_and_b32 vcc_lo, exec_lo, s17
	s_cbranch_vccnz .LBB36_20
.LBB36_18:                              ;   in Loop: Header=BB36_8 Depth=1
	s_delay_alu instid0(VALU_DEP_1)
	v_mov_b64_e32 v[4:5], v[8:9]
	s_and_saveexec_b32 s17, s16
	s_cbranch_execnz .LBB36_21
	s_branch .LBB36_22
.LBB36_19:                              ;   in Loop: Header=BB36_8 Depth=1
	s_mov_b32 s16, 0
                                        ; implicit-def: $vgpr8_vgpr9
	s_cbranch_execz .LBB36_18
.LBB36_20:                              ;   in Loop: Header=BB36_8 Depth=1
	s_and_not1_b32 s16, s16, exec_lo
	s_and_b32 s17, s2, exec_lo
	s_delay_alu instid0(SALU_CYCLE_1) | instskip(NEXT) | instid1(SALU_CYCLE_1)
	s_or_b32 s16, s16, s17
	s_and_saveexec_b32 s17, s16
.LBB36_21:                              ;   in Loop: Header=BB36_8 Depth=1
	ds_store_b64 v18, v[4:5] offset:16384
.LBB36_22:                              ;   in Loop: Header=BB36_8 Depth=1
	s_or_b32 exec_lo, exec_lo, s17
	s_wait_dscnt 0x0
	s_barrier_signal -1
	s_barrier_wait -1
	s_and_saveexec_b32 s16, s0
	s_cbranch_execz .LBB36_7
; %bb.23:                               ;   in Loop: Header=BB36_8 Depth=1
	global_load_b64 v[4:5], v18, s[12:13]
	ds_load_b64 v[8:9], v18 offset:16384
	s_mov_b32 s17, 0
	s_wait_loadcnt_dscnt 0x0
	v_dual_mul_f32 v6, v4, v9 :: v_dual_mul_f32 v7, v4, v8
	v_xor_b32_e32 v10, 0x80000000, v5
	s_delay_alu instid0(VALU_DEP_2) | instskip(NEXT) | instid1(VALU_DEP_3)
	v_xor_b32_e32 v4, 0x80000000, v6
	v_xor_b32_e32 v6, 0x80000000, v7
	s_delay_alu instid0(VALU_DEP_1) | instskip(SKIP_2) | instid1(VALU_DEP_3)
	v_dual_fmac_f32 v4, v8, v10 :: v_dual_fmac_f32 v6, v5, v9
	v_mov_b64_e32 v[8:9], v[2:3]
	v_mov_b64_e32 v[10:11], v[0:1]
	v_dual_mov_b32 v19, v12 :: v_dual_mov_b32 v5, v4
	s_delay_alu instid0(VALU_DEP_4)
	v_mov_b32_e32 v7, v6
.LBB36_24:                              ;   Parent Loop BB36_8 Depth=1
                                        ; =>  This Inner Loop Header: Depth=2
	flat_load_b64 v[20:21], v[8:9]
	ds_load_b64 v[22:23], v19
	v_add_nc_u64_e32 v[10:11], 0x80, v[10:11]
	v_add_nc_u32_e32 v19, 0x400, v19
	s_delay_alu instid0(VALU_DEP_2) | instskip(SKIP_3) | instid1(VALU_DEP_1)
	v_cmp_le_i64_e32 vcc_lo, s[6:7], v[10:11]
	s_or_b32 s17, vcc_lo, s17
	s_wait_dscnt 0x0
	v_pk_mul_f32 v[24:25], v[6:7], v[22:23]
	v_pk_fma_f32 v[26:27], v[4:5], v[22:23], v[24:25] op_sel:[0,1,0] op_sel_hi:[1,0,1] neg_lo:[0,0,1] neg_hi:[0,0,1]
	v_pk_fma_f32 v[22:23], v[4:5], v[22:23], v[24:25] op_sel:[0,1,0] op_sel_hi:[1,0,1]
	s_delay_alu instid0(VALU_DEP_2) | instskip(SKIP_1) | instid1(VALU_DEP_1)
	v_mov_b32_e32 v23, v27
	s_wait_loadcnt 0x0
	v_pk_add_f32 v[20:21], v[20:21], v[22:23]
	flat_store_b64 v[8:9], v[20:21]
	s_wait_xcnt 0x0
	v_add_nc_u64_e32 v[8:9], s[14:15], v[8:9]
	s_and_not1_b32 exec_lo, exec_lo, s17
	s_cbranch_execnz .LBB36_24
	s_branch .LBB36_7
.LBB36_25:
	s_endpgm
	.section	.rodata,"a",@progbits
	.p2align	6, 0x0
	.amdhsa_kernel _ZN9rocsolver6v33100L23larf_right_kernel_smallILi128E19rocblas_complex_numIfElPKPS3_EEvT1_S7_T2_lS7_lPKT0_lS8_lS7_l
		.amdhsa_group_segment_fixed_size 16416
		.amdhsa_private_segment_fixed_size 0
		.amdhsa_kernarg_size 96
		.amdhsa_user_sgpr_count 2
		.amdhsa_user_sgpr_dispatch_ptr 0
		.amdhsa_user_sgpr_queue_ptr 0
		.amdhsa_user_sgpr_kernarg_segment_ptr 1
		.amdhsa_user_sgpr_dispatch_id 0
		.amdhsa_user_sgpr_kernarg_preload_length 0
		.amdhsa_user_sgpr_kernarg_preload_offset 0
		.amdhsa_user_sgpr_private_segment_size 0
		.amdhsa_wavefront_size32 1
		.amdhsa_uses_dynamic_stack 0
		.amdhsa_enable_private_segment 0
		.amdhsa_system_sgpr_workgroup_id_x 1
		.amdhsa_system_sgpr_workgroup_id_y 1
		.amdhsa_system_sgpr_workgroup_id_z 0
		.amdhsa_system_sgpr_workgroup_info 0
		.amdhsa_system_vgpr_workitem_id 0
		.amdhsa_next_free_vgpr 28
		.amdhsa_next_free_sgpr 27
		.amdhsa_named_barrier_count 0
		.amdhsa_reserve_vcc 1
		.amdhsa_float_round_mode_32 0
		.amdhsa_float_round_mode_16_64 0
		.amdhsa_float_denorm_mode_32 3
		.amdhsa_float_denorm_mode_16_64 3
		.amdhsa_fp16_overflow 0
		.amdhsa_memory_ordered 1
		.amdhsa_forward_progress 1
		.amdhsa_inst_pref_size 11
		.amdhsa_round_robin_scheduling 0
		.amdhsa_exception_fp_ieee_invalid_op 0
		.amdhsa_exception_fp_denorm_src 0
		.amdhsa_exception_fp_ieee_div_zero 0
		.amdhsa_exception_fp_ieee_overflow 0
		.amdhsa_exception_fp_ieee_underflow 0
		.amdhsa_exception_fp_ieee_inexact 0
		.amdhsa_exception_int_div_zero 0
	.end_amdhsa_kernel
	.section	.text._ZN9rocsolver6v33100L23larf_right_kernel_smallILi128E19rocblas_complex_numIfElPKPS3_EEvT1_S7_T2_lS7_lPKT0_lS8_lS7_l,"axG",@progbits,_ZN9rocsolver6v33100L23larf_right_kernel_smallILi128E19rocblas_complex_numIfElPKPS3_EEvT1_S7_T2_lS7_lPKT0_lS8_lS7_l,comdat
.Lfunc_end36:
	.size	_ZN9rocsolver6v33100L23larf_right_kernel_smallILi128E19rocblas_complex_numIfElPKPS3_EEvT1_S7_T2_lS7_lPKT0_lS8_lS7_l, .Lfunc_end36-_ZN9rocsolver6v33100L23larf_right_kernel_smallILi128E19rocblas_complex_numIfElPKPS3_EEvT1_S7_T2_lS7_lPKT0_lS8_lS7_l
                                        ; -- End function
	.set _ZN9rocsolver6v33100L23larf_right_kernel_smallILi128E19rocblas_complex_numIfElPKPS3_EEvT1_S7_T2_lS7_lPKT0_lS8_lS7_l.num_vgpr, 28
	.set _ZN9rocsolver6v33100L23larf_right_kernel_smallILi128E19rocblas_complex_numIfElPKPS3_EEvT1_S7_T2_lS7_lPKT0_lS8_lS7_l.num_agpr, 0
	.set _ZN9rocsolver6v33100L23larf_right_kernel_smallILi128E19rocblas_complex_numIfElPKPS3_EEvT1_S7_T2_lS7_lPKT0_lS8_lS7_l.numbered_sgpr, 27
	.set _ZN9rocsolver6v33100L23larf_right_kernel_smallILi128E19rocblas_complex_numIfElPKPS3_EEvT1_S7_T2_lS7_lPKT0_lS8_lS7_l.num_named_barrier, 0
	.set _ZN9rocsolver6v33100L23larf_right_kernel_smallILi128E19rocblas_complex_numIfElPKPS3_EEvT1_S7_T2_lS7_lPKT0_lS8_lS7_l.private_seg_size, 0
	.set _ZN9rocsolver6v33100L23larf_right_kernel_smallILi128E19rocblas_complex_numIfElPKPS3_EEvT1_S7_T2_lS7_lPKT0_lS8_lS7_l.uses_vcc, 1
	.set _ZN9rocsolver6v33100L23larf_right_kernel_smallILi128E19rocblas_complex_numIfElPKPS3_EEvT1_S7_T2_lS7_lPKT0_lS8_lS7_l.uses_flat_scratch, 0
	.set _ZN9rocsolver6v33100L23larf_right_kernel_smallILi128E19rocblas_complex_numIfElPKPS3_EEvT1_S7_T2_lS7_lPKT0_lS8_lS7_l.has_dyn_sized_stack, 0
	.set _ZN9rocsolver6v33100L23larf_right_kernel_smallILi128E19rocblas_complex_numIfElPKPS3_EEvT1_S7_T2_lS7_lPKT0_lS8_lS7_l.has_recursion, 0
	.set _ZN9rocsolver6v33100L23larf_right_kernel_smallILi128E19rocblas_complex_numIfElPKPS3_EEvT1_S7_T2_lS7_lPKT0_lS8_lS7_l.has_indirect_call, 0
	.section	.AMDGPU.csdata,"",@progbits
; Kernel info:
; codeLenInByte = 1376
; TotalNumSgprs: 29
; NumVgprs: 28
; ScratchSize: 0
; MemoryBound: 0
; FloatMode: 240
; IeeeMode: 1
; LDSByteSize: 16416 bytes/workgroup (compile time only)
; SGPRBlocks: 0
; VGPRBlocks: 1
; NumSGPRsForWavesPerEU: 29
; NumVGPRsForWavesPerEU: 28
; NamedBarCnt: 0
; Occupancy: 16
; WaveLimiterHint : 1
; COMPUTE_PGM_RSRC2:SCRATCH_EN: 0
; COMPUTE_PGM_RSRC2:USER_SGPR: 2
; COMPUTE_PGM_RSRC2:TRAP_HANDLER: 0
; COMPUTE_PGM_RSRC2:TGID_X_EN: 1
; COMPUTE_PGM_RSRC2:TGID_Y_EN: 1
; COMPUTE_PGM_RSRC2:TGID_Z_EN: 0
; COMPUTE_PGM_RSRC2:TIDIG_COMP_CNT: 0
	.section	.text._ZN9rocsolver6v33100L23larf_right_kernel_smallILi256E19rocblas_complex_numIfElPKPS3_EEvT1_S7_T2_lS7_lPKT0_lS8_lS7_l,"axG",@progbits,_ZN9rocsolver6v33100L23larf_right_kernel_smallILi256E19rocblas_complex_numIfElPKPS3_EEvT1_S7_T2_lS7_lPKT0_lS8_lS7_l,comdat
	.globl	_ZN9rocsolver6v33100L23larf_right_kernel_smallILi256E19rocblas_complex_numIfElPKPS3_EEvT1_S7_T2_lS7_lPKT0_lS8_lS7_l ; -- Begin function _ZN9rocsolver6v33100L23larf_right_kernel_smallILi256E19rocblas_complex_numIfElPKPS3_EEvT1_S7_T2_lS7_lPKT0_lS8_lS7_l
	.p2align	8
	.type	_ZN9rocsolver6v33100L23larf_right_kernel_smallILi256E19rocblas_complex_numIfElPKPS3_EEvT1_S7_T2_lS7_lPKT0_lS8_lS7_l,@function
_ZN9rocsolver6v33100L23larf_right_kernel_smallILi256E19rocblas_complex_numIfElPKPS3_EEvT1_S7_T2_lS7_lPKT0_lS8_lS7_l: ; @_ZN9rocsolver6v33100L23larf_right_kernel_smallILi256E19rocblas_complex_numIfElPKPS3_EEvT1_S7_T2_lS7_lPKT0_lS8_lS7_l
; %bb.0:
	s_clause 0x3
	s_load_b64 s[22:23], s[0:1], 0x20
	s_load_b256 s[4:11], s[0:1], 0x0
	s_load_b256 s[12:19], s[0:1], 0x30
	s_load_b64 s[20:21], s[0:1], 0x50
	s_wait_xcnt 0x0
	s_bfe_u32 s0, ttmp6, 0x4000c
	s_and_b32 s2, ttmp6, 15
	s_add_co_i32 s0, s0, 1
	s_getreg_b32 s1, hwreg(HW_REG_IB_STS2, 6, 4)
	s_mul_i32 s0, ttmp9, s0
	s_mov_b32 s3, 0
	s_add_co_i32 s2, s2, s0
	s_cmp_eq_u32 s1, 0
	s_cselect_b32 s2, ttmp9, s2
	s_wait_kmcnt 0x0
	v_cmp_gt_i64_e64 s24, s[22:23], 0
	s_and_b32 vcc_lo, exec_lo, s24
	s_mov_b64 s[24:25], 0
	s_cbranch_vccnz .LBB37_2
; %bb.1:
	s_sub_nc_u64 s[24:25], 1, s[6:7]
	s_delay_alu instid0(SALU_CYCLE_1)
	s_mul_u64 s[24:25], s[22:23], s[24:25]
.LBB37_2:
	s_load_b64 s[16:17], s[16:17], s2 offset:0x0 scale_offset
	v_dual_mov_b32 v1, 0 :: v_dual_lshlrev_b32 v12, 3, v0
	s_delay_alu instid0(VALU_DEP_1)
	v_cmp_gt_i64_e64 s0, s[6:7], v[0:1]
	s_and_saveexec_b32 s26, s0
	s_cbranch_execz .LBB37_5
; %bb.3:
	v_mul_u64_e32 v[2:3], s[22:23], v[0:1]
	s_load_b64 s[8:9], s[8:9], s2 offset:0x0 scale_offset
	s_lshl_b64 s[10:11], s[10:11], 3
	s_lshl_b64 s[24:25], s[24:25], 3
	v_mov_b64_e32 v[4:5], v[0:1]
	v_lshlrev_b32_e32 v6, 3, v0
	s_wait_kmcnt 0x0
	s_add_nc_u64 s[8:9], s[8:9], s[10:11]
	s_mov_b32 s10, 0
	s_add_nc_u64 s[8:9], s[8:9], s[24:25]
	s_delay_alu instid0(VALU_DEP_3) | instid1(SALU_CYCLE_1)
	v_lshl_add_u64 v[2:3], v[2:3], 3, s[8:9]
	s_lshl_b64 s[8:9], s[22:23], 11
.LBB37_4:                               ; =>This Inner Loop Header: Depth=1
	flat_load_b64 v[8:9], v[2:3]
	v_add_nc_u64_e32 v[4:5], 0x100, v[4:5]
	s_wait_xcnt 0x0
	v_add_nc_u64_e32 v[2:3], s[8:9], v[2:3]
	s_delay_alu instid0(VALU_DEP_2)
	v_cmp_le_i64_e32 vcc_lo, s[6:7], v[4:5]
	s_or_b32 s10, vcc_lo, s10
	s_wait_loadcnt_dscnt 0x0
	ds_store_b64 v6, v[8:9]
	v_add_nc_u32_e32 v6, 0x800, v6
	s_and_not1_b32 exec_lo, exec_lo, s10
	s_cbranch_execnz .LBB37_4
.LBB37_5:
	s_or_b32 exec_lo, exec_lo, s26
	s_bfe_u32 s8, ttmp6, 0x40010
	s_bfe_u32 s9, ttmp6, 0x40004
	s_add_co_i32 s8, s8, 1
	s_wait_dscnt 0x0
	s_mul_i32 s8, ttmp7, s8
	s_barrier_signal -1
	s_add_co_i32 s8, s9, s8
	s_cmp_eq_u32 s1, 0
	s_mov_b32 s9, 0
	s_cselect_b32 s8, ttmp7, s8
	s_barrier_wait -1
	v_cmp_le_i64_e64 s1, s[4:5], s[8:9]
	s_and_b32 vcc_lo, exec_lo, s1
	s_cbranch_vccnz .LBB37_25
; %bb.6:
	v_mul_u64_e32 v[2:3], s[20:21], v[0:1]
	s_mul_u64 s[10:11], s[14:15], s[2:3]
	s_lshl_b64 s[22:23], s[18:19], 3
	s_lshl_b64 s[14:15], s[10:11], 3
	s_cmp_gt_i32 s6, 1
	v_mul_lo_u32 v13, v0, s20
	s_cselect_b32 s18, -1, 0
	s_lshl_b64 s[24:25], s[8:9], 3
	v_dual_lshrrev_b32 v5, 2, v0 :: v_dual_bitop2_b32 v4, 31, v0 bitop3:0x40
	v_mbcnt_lo_u32_b32 v14, -1, 0
	s_wait_kmcnt 0x0
	s_add_nc_u64 s[10:11], s[16:17], s[22:23]
	s_add_nc_u64 s[16:17], s[16:17], s[24:25]
	v_cmp_gt_i32_e64 s1, s6, v0
	s_add_nc_u64 s[16:17], s[16:17], s[22:23]
	v_cmp_eq_u32_e64 s2, 0, v0
	v_dual_mov_b32 v15, 0x4008 :: v_dual_mov_b32 v20, 0
	v_mov_b32_e32 v16, 0x4018
	v_mov_b32_e32 v17, 0x4028
	v_cmp_eq_u32_e64 s3, 0, v4
	v_lshl_or_b32 v18, v14, 2, 64
	v_or_b32_e32 v19, 0x4000, v5
	s_add_nc_u64 s[12:13], s[12:13], s[14:15]
	s_lshl_b32 s19, s20, 8
	s_lshl_b64 s[14:15], s[20:21], 11
	v_lshl_add_u64 v[2:3], v[2:3], 3, s[16:17]
	s_branch .LBB37_8
.LBB37_7:                               ;   in Loop: Header=BB37_8 Depth=1
	s_or_b32 exec_lo, exec_lo, s16
	s_add_nc_u64 s[8:9], s[8:9], 64
	v_add_nc_u64_e32 v[2:3], 0x200, v[2:3]
	v_cmp_ge_i64_e64 s16, s[8:9], s[4:5]
	s_and_b32 vcc_lo, exec_lo, s16
	s_cbranch_vccnz .LBB37_25
.LBB37_8:                               ; =>This Loop Header: Depth=1
                                        ;     Child Loop BB37_10 Depth 2
                                        ;     Child Loop BB37_24 Depth 2
	v_mov_b64_e32 v[4:5], 0
	s_and_saveexec_b32 s20, s1
	s_cbranch_execz .LBB37_12
; %bb.9:                                ;   in Loop: Header=BB37_8 Depth=1
	v_dual_mov_b32 v4, 0 :: v_dual_mov_b32 v6, v13
	v_dual_mov_b32 v7, v12 :: v_dual_mov_b32 v8, v0
	s_lshl_b64 s[16:17], s[8:9], 3
	s_delay_alu instid0(VALU_DEP_2)
	v_mov_b32_e32 v5, v4
	s_add_nc_u64 s[16:17], s[10:11], s[16:17]
	s_mov_b32 s21, 0
.LBB37_10:                              ;   Parent Loop BB37_8 Depth=1
                                        ; =>  This Inner Loop Header: Depth=2
	flat_load_b64 v[10:11], v6, s[16:17] scale_offset
	ds_load_b64 v[22:23], v7
	v_add_nc_u32_e32 v7, 0x800, v7
	s_wait_xcnt 0x0
	v_add_nc_u32_e32 v6, s19, v6
	s_wait_loadcnt_dscnt 0x0
	v_pk_mul_f32 v[24:25], v[10:11], v[22:23] op_sel:[1,1] op_sel_hi:[0,1]
	s_delay_alu instid0(VALU_DEP_1) | instskip(SKIP_2) | instid1(VALU_DEP_3)
	v_pk_fma_f32 v[26:27], v[10:11], v[22:23], v[24:25] op_sel_hi:[1,0,1]
	v_add_nc_u32_e32 v8, 0x100, v8
	v_pk_fma_f32 v[10:11], v[10:11], v[22:23], v[24:25] neg_lo:[0,0,1] neg_hi:[0,0,1]
	v_mov_b32_e32 v11, v27
	s_delay_alu instid0(VALU_DEP_3) | instskip(NEXT) | instid1(VALU_DEP_2)
	v_cmp_le_i32_e32 vcc_lo, s6, v8
	v_pk_add_f32 v[4:5], v[4:5], v[10:11]
	s_or_b32 s21, vcc_lo, s21
	s_delay_alu instid0(SALU_CYCLE_1)
	s_and_not1_b32 exec_lo, exec_lo, s21
	s_cbranch_execnz .LBB37_10
; %bb.11:                               ;   in Loop: Header=BB37_8 Depth=1
	s_or_b32 exec_lo, exec_lo, s21
.LBB37_12:                              ;   in Loop: Header=BB37_8 Depth=1
	s_delay_alu instid0(SALU_CYCLE_1) | instskip(NEXT) | instid1(SALU_CYCLE_1)
	s_or_b32 exec_lo, exec_lo, s20
	s_and_b32 vcc_lo, exec_lo, s18
	s_cbranch_vccz .LBB37_19
; %bb.13:                               ;   in Loop: Header=BB37_8 Depth=1
	v_cmp_ne_u32_e32 vcc_lo, 31, v14
	v_add_co_ci_u32_e64 v6, null, 0, v14, vcc_lo
	v_cmp_gt_u32_e32 vcc_lo, 30, v14
	s_delay_alu instid0(VALU_DEP_2)
	v_lshlrev_b32_e32 v7, 2, v6
	v_cndmask_b32_e64 v8, 0, 2, vcc_lo
	v_cmp_gt_u32_e32 vcc_lo, 28, v14
	ds_bpermute_b32 v6, v7, v4
	ds_bpermute_b32 v7, v7, v5
	v_add_lshl_u32 v9, v8, v14, 2
	v_cndmask_b32_e64 v10, 0, 4, vcc_lo
	v_cmp_gt_u32_e32 vcc_lo, 24, v14
	s_delay_alu instid0(VALU_DEP_2)
	v_add_lshl_u32 v10, v10, v14, 2
	s_wait_dscnt 0x0
	v_pk_add_f32 v[6:7], v[4:5], v[6:7]
	ds_bpermute_b32 v8, v9, v6
	ds_bpermute_b32 v9, v9, v7
	s_wait_dscnt 0x0
	v_pk_add_f32 v[6:7], v[6:7], v[8:9]
	ds_bpermute_b32 v8, v10, v6
	ds_bpermute_b32 v9, v10, v7
	v_cndmask_b32_e64 v10, 0, 8, vcc_lo
	s_delay_alu instid0(VALU_DEP_1)
	v_add_lshl_u32 v10, v10, v14, 2
	s_wait_dscnt 0x0
	v_pk_add_f32 v[6:7], v[6:7], v[8:9]
	ds_bpermute_b32 v8, v10, v6
	ds_bpermute_b32 v9, v10, v7
	s_wait_dscnt 0x0
	v_pk_add_f32 v[6:7], v[6:7], v[8:9]
	ds_bpermute_b32 v8, v18, v6
	ds_bpermute_b32 v9, v18, v7
	s_wait_dscnt 0x0
	v_pk_add_f32 v[6:7], v[6:7], v[8:9]
	s_and_saveexec_b32 s16, s3
; %bb.14:                               ;   in Loop: Header=BB37_8 Depth=1
	ds_store_2addr_b32 v19, v6, v7 offset1:1
; %bb.15:                               ;   in Loop: Header=BB37_8 Depth=1
	s_or_b32 exec_lo, exec_lo, s16
	s_mov_b32 s17, 0
	s_mov_b32 s16, 0
	s_wait_dscnt 0x0
	s_barrier_signal -1
	s_barrier_wait -1
                                        ; implicit-def: $vgpr8_vgpr9
	s_and_saveexec_b32 s20, s2
	s_delay_alu instid0(SALU_CYCLE_1)
	s_xor_b32 s20, exec_lo, s20
	s_cbranch_execz .LBB37_17
; %bb.16:                               ;   in Loop: Header=BB37_8 Depth=1
	ds_load_2addr_b64 v[8:11], v15 offset1:1
	ds_load_2addr_b64 v[22:25], v16 offset1:1
	s_mov_b32 s16, exec_lo
	s_wait_dscnt 0x1
	v_pk_add_f32 v[26:27], v[6:7], v[8:9]
	ds_load_2addr_b64 v[6:9], v17 offset1:1
	v_pk_add_f32 v[10:11], v[26:27], v[10:11]
	s_wait_dscnt 0x1
	s_delay_alu instid0(VALU_DEP_1) | instskip(SKIP_3) | instid1(VALU_DEP_1)
	v_pk_add_f32 v[10:11], v[10:11], v[22:23]
	ds_load_b64 v[22:23], v20 offset:16440
	v_pk_add_f32 v[10:11], v[10:11], v[24:25]
	s_wait_dscnt 0x1
	v_pk_add_f32 v[6:7], v[10:11], v[6:7]
	s_delay_alu instid0(VALU_DEP_1) | instskip(SKIP_1) | instid1(VALU_DEP_1)
	v_pk_add_f32 v[6:7], v[6:7], v[8:9]
	s_wait_dscnt 0x0
	v_pk_add_f32 v[8:9], v[6:7], v[22:23]
.LBB37_17:                              ;   in Loop: Header=BB37_8 Depth=1
	s_or_b32 exec_lo, exec_lo, s20
	s_delay_alu instid0(SALU_CYCLE_1)
	s_and_b32 vcc_lo, exec_lo, s17
	s_cbranch_vccnz .LBB37_20
.LBB37_18:                              ;   in Loop: Header=BB37_8 Depth=1
	s_delay_alu instid0(VALU_DEP_1)
	v_mov_b64_e32 v[4:5], v[8:9]
	s_and_saveexec_b32 s17, s16
	s_cbranch_execnz .LBB37_21
	s_branch .LBB37_22
.LBB37_19:                              ;   in Loop: Header=BB37_8 Depth=1
	s_mov_b32 s16, 0
                                        ; implicit-def: $vgpr8_vgpr9
	s_cbranch_execz .LBB37_18
.LBB37_20:                              ;   in Loop: Header=BB37_8 Depth=1
	s_and_not1_b32 s16, s16, exec_lo
	s_and_b32 s17, s2, exec_lo
	s_delay_alu instid0(SALU_CYCLE_1) | instskip(NEXT) | instid1(SALU_CYCLE_1)
	s_or_b32 s16, s16, s17
	s_and_saveexec_b32 s17, s16
.LBB37_21:                              ;   in Loop: Header=BB37_8 Depth=1
	ds_store_b64 v20, v[4:5] offset:16384
.LBB37_22:                              ;   in Loop: Header=BB37_8 Depth=1
	s_or_b32 exec_lo, exec_lo, s17
	s_wait_dscnt 0x0
	s_barrier_signal -1
	s_barrier_wait -1
	s_and_saveexec_b32 s16, s0
	s_cbranch_execz .LBB37_7
; %bb.23:                               ;   in Loop: Header=BB37_8 Depth=1
	global_load_b64 v[4:5], v20, s[12:13]
	ds_load_b64 v[8:9], v20 offset:16384
	s_mov_b32 s17, 0
	s_wait_loadcnt_dscnt 0x0
	v_dual_mul_f32 v6, v4, v9 :: v_dual_mul_f32 v7, v4, v8
	v_xor_b32_e32 v10, 0x80000000, v5
	s_delay_alu instid0(VALU_DEP_2) | instskip(NEXT) | instid1(VALU_DEP_3)
	v_xor_b32_e32 v4, 0x80000000, v6
	v_xor_b32_e32 v6, 0x80000000, v7
	s_delay_alu instid0(VALU_DEP_1) | instskip(SKIP_2) | instid1(VALU_DEP_3)
	v_dual_fmac_f32 v4, v8, v10 :: v_dual_fmac_f32 v6, v5, v9
	v_mov_b64_e32 v[8:9], v[2:3]
	v_mov_b64_e32 v[10:11], v[0:1]
	v_dual_mov_b32 v21, v12 :: v_dual_mov_b32 v5, v4
	s_delay_alu instid0(VALU_DEP_4)
	v_mov_b32_e32 v7, v6
.LBB37_24:                              ;   Parent Loop BB37_8 Depth=1
                                        ; =>  This Inner Loop Header: Depth=2
	flat_load_b64 v[22:23], v[8:9]
	ds_load_b64 v[24:25], v21
	v_add_nc_u64_e32 v[10:11], 0x100, v[10:11]
	v_add_nc_u32_e32 v21, 0x800, v21
	s_delay_alu instid0(VALU_DEP_2) | instskip(SKIP_3) | instid1(VALU_DEP_1)
	v_cmp_le_i64_e32 vcc_lo, s[6:7], v[10:11]
	s_or_b32 s17, vcc_lo, s17
	s_wait_dscnt 0x0
	v_pk_mul_f32 v[26:27], v[6:7], v[24:25]
	v_pk_fma_f32 v[28:29], v[4:5], v[24:25], v[26:27] op_sel:[0,1,0] op_sel_hi:[1,0,1] neg_lo:[0,0,1] neg_hi:[0,0,1]
	v_pk_fma_f32 v[24:25], v[4:5], v[24:25], v[26:27] op_sel:[0,1,0] op_sel_hi:[1,0,1]
	s_delay_alu instid0(VALU_DEP_2) | instskip(SKIP_1) | instid1(VALU_DEP_1)
	v_mov_b32_e32 v25, v29
	s_wait_loadcnt 0x0
	v_pk_add_f32 v[22:23], v[22:23], v[24:25]
	flat_store_b64 v[8:9], v[22:23]
	s_wait_xcnt 0x0
	v_add_nc_u64_e32 v[8:9], s[14:15], v[8:9]
	s_and_not1_b32 exec_lo, exec_lo, s17
	s_cbranch_execnz .LBB37_24
	s_branch .LBB37_7
.LBB37_25:
	s_endpgm
	.section	.rodata,"a",@progbits
	.p2align	6, 0x0
	.amdhsa_kernel _ZN9rocsolver6v33100L23larf_right_kernel_smallILi256E19rocblas_complex_numIfElPKPS3_EEvT1_S7_T2_lS7_lPKT0_lS8_lS7_l
		.amdhsa_group_segment_fixed_size 16448
		.amdhsa_private_segment_fixed_size 0
		.amdhsa_kernarg_size 96
		.amdhsa_user_sgpr_count 2
		.amdhsa_user_sgpr_dispatch_ptr 0
		.amdhsa_user_sgpr_queue_ptr 0
		.amdhsa_user_sgpr_kernarg_segment_ptr 1
		.amdhsa_user_sgpr_dispatch_id 0
		.amdhsa_user_sgpr_kernarg_preload_length 0
		.amdhsa_user_sgpr_kernarg_preload_offset 0
		.amdhsa_user_sgpr_private_segment_size 0
		.amdhsa_wavefront_size32 1
		.amdhsa_uses_dynamic_stack 0
		.amdhsa_enable_private_segment 0
		.amdhsa_system_sgpr_workgroup_id_x 1
		.amdhsa_system_sgpr_workgroup_id_y 1
		.amdhsa_system_sgpr_workgroup_id_z 0
		.amdhsa_system_sgpr_workgroup_info 0
		.amdhsa_system_vgpr_workitem_id 0
		.amdhsa_next_free_vgpr 30
		.amdhsa_next_free_sgpr 27
		.amdhsa_named_barrier_count 0
		.amdhsa_reserve_vcc 1
		.amdhsa_float_round_mode_32 0
		.amdhsa_float_round_mode_16_64 0
		.amdhsa_float_denorm_mode_32 3
		.amdhsa_float_denorm_mode_16_64 3
		.amdhsa_fp16_overflow 0
		.amdhsa_memory_ordered 1
		.amdhsa_forward_progress 1
		.amdhsa_inst_pref_size 12
		.amdhsa_round_robin_scheduling 0
		.amdhsa_exception_fp_ieee_invalid_op 0
		.amdhsa_exception_fp_denorm_src 0
		.amdhsa_exception_fp_ieee_div_zero 0
		.amdhsa_exception_fp_ieee_overflow 0
		.amdhsa_exception_fp_ieee_underflow 0
		.amdhsa_exception_fp_ieee_inexact 0
		.amdhsa_exception_int_div_zero 0
	.end_amdhsa_kernel
	.section	.text._ZN9rocsolver6v33100L23larf_right_kernel_smallILi256E19rocblas_complex_numIfElPKPS3_EEvT1_S7_T2_lS7_lPKT0_lS8_lS7_l,"axG",@progbits,_ZN9rocsolver6v33100L23larf_right_kernel_smallILi256E19rocblas_complex_numIfElPKPS3_EEvT1_S7_T2_lS7_lPKT0_lS8_lS7_l,comdat
.Lfunc_end37:
	.size	_ZN9rocsolver6v33100L23larf_right_kernel_smallILi256E19rocblas_complex_numIfElPKPS3_EEvT1_S7_T2_lS7_lPKT0_lS8_lS7_l, .Lfunc_end37-_ZN9rocsolver6v33100L23larf_right_kernel_smallILi256E19rocblas_complex_numIfElPKPS3_EEvT1_S7_T2_lS7_lPKT0_lS8_lS7_l
                                        ; -- End function
	.set _ZN9rocsolver6v33100L23larf_right_kernel_smallILi256E19rocblas_complex_numIfElPKPS3_EEvT1_S7_T2_lS7_lPKT0_lS8_lS7_l.num_vgpr, 30
	.set _ZN9rocsolver6v33100L23larf_right_kernel_smallILi256E19rocblas_complex_numIfElPKPS3_EEvT1_S7_T2_lS7_lPKT0_lS8_lS7_l.num_agpr, 0
	.set _ZN9rocsolver6v33100L23larf_right_kernel_smallILi256E19rocblas_complex_numIfElPKPS3_EEvT1_S7_T2_lS7_lPKT0_lS8_lS7_l.numbered_sgpr, 27
	.set _ZN9rocsolver6v33100L23larf_right_kernel_smallILi256E19rocblas_complex_numIfElPKPS3_EEvT1_S7_T2_lS7_lPKT0_lS8_lS7_l.num_named_barrier, 0
	.set _ZN9rocsolver6v33100L23larf_right_kernel_smallILi256E19rocblas_complex_numIfElPKPS3_EEvT1_S7_T2_lS7_lPKT0_lS8_lS7_l.private_seg_size, 0
	.set _ZN9rocsolver6v33100L23larf_right_kernel_smallILi256E19rocblas_complex_numIfElPKPS3_EEvT1_S7_T2_lS7_lPKT0_lS8_lS7_l.uses_vcc, 1
	.set _ZN9rocsolver6v33100L23larf_right_kernel_smallILi256E19rocblas_complex_numIfElPKPS3_EEvT1_S7_T2_lS7_lPKT0_lS8_lS7_l.uses_flat_scratch, 0
	.set _ZN9rocsolver6v33100L23larf_right_kernel_smallILi256E19rocblas_complex_numIfElPKPS3_EEvT1_S7_T2_lS7_lPKT0_lS8_lS7_l.has_dyn_sized_stack, 0
	.set _ZN9rocsolver6v33100L23larf_right_kernel_smallILi256E19rocblas_complex_numIfElPKPS3_EEvT1_S7_T2_lS7_lPKT0_lS8_lS7_l.has_recursion, 0
	.set _ZN9rocsolver6v33100L23larf_right_kernel_smallILi256E19rocblas_complex_numIfElPKPS3_EEvT1_S7_T2_lS7_lPKT0_lS8_lS7_l.has_indirect_call, 0
	.section	.AMDGPU.csdata,"",@progbits
; Kernel info:
; codeLenInByte = 1464
; TotalNumSgprs: 29
; NumVgprs: 30
; ScratchSize: 0
; MemoryBound: 0
; FloatMode: 240
; IeeeMode: 1
; LDSByteSize: 16448 bytes/workgroup (compile time only)
; SGPRBlocks: 0
; VGPRBlocks: 1
; NumSGPRsForWavesPerEU: 29
; NumVGPRsForWavesPerEU: 30
; NamedBarCnt: 0
; Occupancy: 16
; WaveLimiterHint : 1
; COMPUTE_PGM_RSRC2:SCRATCH_EN: 0
; COMPUTE_PGM_RSRC2:USER_SGPR: 2
; COMPUTE_PGM_RSRC2:TRAP_HANDLER: 0
; COMPUTE_PGM_RSRC2:TGID_X_EN: 1
; COMPUTE_PGM_RSRC2:TGID_Y_EN: 1
; COMPUTE_PGM_RSRC2:TGID_Z_EN: 0
; COMPUTE_PGM_RSRC2:TIDIG_COMP_CNT: 0
	.section	.text._ZN9rocsolver6v33100L23larf_right_kernel_smallILi512E19rocblas_complex_numIfElPKPS3_EEvT1_S7_T2_lS7_lPKT0_lS8_lS7_l,"axG",@progbits,_ZN9rocsolver6v33100L23larf_right_kernel_smallILi512E19rocblas_complex_numIfElPKPS3_EEvT1_S7_T2_lS7_lPKT0_lS8_lS7_l,comdat
	.globl	_ZN9rocsolver6v33100L23larf_right_kernel_smallILi512E19rocblas_complex_numIfElPKPS3_EEvT1_S7_T2_lS7_lPKT0_lS8_lS7_l ; -- Begin function _ZN9rocsolver6v33100L23larf_right_kernel_smallILi512E19rocblas_complex_numIfElPKPS3_EEvT1_S7_T2_lS7_lPKT0_lS8_lS7_l
	.p2align	8
	.type	_ZN9rocsolver6v33100L23larf_right_kernel_smallILi512E19rocblas_complex_numIfElPKPS3_EEvT1_S7_T2_lS7_lPKT0_lS8_lS7_l,@function
_ZN9rocsolver6v33100L23larf_right_kernel_smallILi512E19rocblas_complex_numIfElPKPS3_EEvT1_S7_T2_lS7_lPKT0_lS8_lS7_l: ; @_ZN9rocsolver6v33100L23larf_right_kernel_smallILi512E19rocblas_complex_numIfElPKPS3_EEvT1_S7_T2_lS7_lPKT0_lS8_lS7_l
; %bb.0:
	s_clause 0x3
	s_load_b64 s[22:23], s[0:1], 0x20
	s_load_b256 s[4:11], s[0:1], 0x0
	s_load_b256 s[12:19], s[0:1], 0x30
	s_load_b64 s[20:21], s[0:1], 0x50
	s_wait_xcnt 0x0
	s_bfe_u32 s0, ttmp6, 0x4000c
	s_and_b32 s2, ttmp6, 15
	s_add_co_i32 s0, s0, 1
	s_getreg_b32 s1, hwreg(HW_REG_IB_STS2, 6, 4)
	s_mul_i32 s0, ttmp9, s0
	s_mov_b32 s3, 0
	s_add_co_i32 s2, s2, s0
	s_cmp_eq_u32 s1, 0
	s_cselect_b32 s2, ttmp9, s2
	s_wait_kmcnt 0x0
	v_cmp_gt_i64_e64 s24, s[22:23], 0
	s_and_b32 vcc_lo, exec_lo, s24
	s_mov_b64 s[24:25], 0
	s_cbranch_vccnz .LBB38_2
; %bb.1:
	s_sub_nc_u64 s[24:25], 1, s[6:7]
	s_delay_alu instid0(SALU_CYCLE_1)
	s_mul_u64 s[24:25], s[22:23], s[24:25]
.LBB38_2:
	s_load_b64 s[16:17], s[16:17], s2 offset:0x0 scale_offset
	v_dual_mov_b32 v1, 0 :: v_dual_lshlrev_b32 v12, 3, v0
	s_delay_alu instid0(VALU_DEP_1)
	v_cmp_gt_i64_e64 s0, s[6:7], v[0:1]
	s_and_saveexec_b32 s26, s0
	s_cbranch_execz .LBB38_5
; %bb.3:
	v_mul_u64_e32 v[2:3], s[22:23], v[0:1]
	s_load_b64 s[8:9], s[8:9], s2 offset:0x0 scale_offset
	s_lshl_b64 s[10:11], s[10:11], 3
	s_lshl_b64 s[24:25], s[24:25], 3
	v_mov_b64_e32 v[4:5], v[0:1]
	v_lshlrev_b32_e32 v6, 3, v0
	s_wait_kmcnt 0x0
	s_add_nc_u64 s[8:9], s[8:9], s[10:11]
	s_mov_b32 s10, 0
	s_add_nc_u64 s[8:9], s[8:9], s[24:25]
	s_delay_alu instid0(VALU_DEP_3) | instid1(SALU_CYCLE_1)
	v_lshl_add_u64 v[2:3], v[2:3], 3, s[8:9]
	s_lshl_b64 s[8:9], s[22:23], 12
.LBB38_4:                               ; =>This Inner Loop Header: Depth=1
	flat_load_b64 v[8:9], v[2:3]
	v_add_nc_u64_e32 v[4:5], 0x200, v[4:5]
	s_wait_xcnt 0x0
	v_add_nc_u64_e32 v[2:3], s[8:9], v[2:3]
	s_delay_alu instid0(VALU_DEP_2)
	v_cmp_le_i64_e32 vcc_lo, s[6:7], v[4:5]
	s_or_b32 s10, vcc_lo, s10
	s_wait_loadcnt_dscnt 0x0
	ds_store_b64 v6, v[8:9]
	v_add_nc_u32_e32 v6, 0x1000, v6
	s_and_not1_b32 exec_lo, exec_lo, s10
	s_cbranch_execnz .LBB38_4
.LBB38_5:
	s_or_b32 exec_lo, exec_lo, s26
	s_bfe_u32 s8, ttmp6, 0x40010
	s_bfe_u32 s9, ttmp6, 0x40004
	s_add_co_i32 s8, s8, 1
	s_wait_dscnt 0x0
	s_mul_i32 s8, ttmp7, s8
	s_barrier_signal -1
	s_add_co_i32 s8, s9, s8
	s_cmp_eq_u32 s1, 0
	s_mov_b32 s9, 0
	s_cselect_b32 s8, ttmp7, s8
	s_barrier_wait -1
	v_cmp_le_i64_e64 s1, s[4:5], s[8:9]
	s_and_b32 vcc_lo, exec_lo, s1
	s_cbranch_vccnz .LBB38_25
; %bb.6:
	v_mul_u64_e32 v[2:3], s[20:21], v[0:1]
	s_mul_u64 s[10:11], s[14:15], s[2:3]
	s_lshl_b64 s[22:23], s[18:19], 3
	s_lshl_b64 s[14:15], s[10:11], 3
	s_cmp_gt_i32 s6, 1
	v_mul_lo_u32 v13, v0, s20
	s_cselect_b32 s18, -1, 0
	s_lshl_b64 s[24:25], s[8:9], 3
	v_dual_lshrrev_b32 v5, 2, v0 :: v_dual_bitop2_b32 v4, 31, v0 bitop3:0x40
	v_mbcnt_lo_u32_b32 v14, -1, 0
	s_wait_kmcnt 0x0
	s_add_nc_u64 s[10:11], s[16:17], s[22:23]
	s_add_nc_u64 s[16:17], s[16:17], s[24:25]
	v_cmp_gt_i32_e64 s1, s6, v0
	s_add_nc_u64 s[16:17], s[16:17], s[22:23]
	v_cmp_eq_u32_e64 s2, 0, v0
	v_dual_mov_b32 v15, 0x4008 :: v_dual_mov_b32 v24, 0
	v_mov_b32_e32 v16, 0x4018
	v_mov_b32_e32 v17, 0x4028
	;; [unrolled: 1-line block ×6, first 2 shown]
	v_cmp_eq_u32_e64 s3, 0, v4
	v_lshl_or_b32 v22, v14, 2, 64
	v_or_b32_e32 v23, 0x4000, v5
	s_add_nc_u64 s[12:13], s[12:13], s[14:15]
	s_lshl_b32 s19, s20, 9
	s_lshl_b64 s[14:15], s[20:21], 12
	v_lshl_add_u64 v[2:3], v[2:3], 3, s[16:17]
	s_branch .LBB38_8
.LBB38_7:                               ;   in Loop: Header=BB38_8 Depth=1
	s_or_b32 exec_lo, exec_lo, s16
	s_add_nc_u64 s[8:9], s[8:9], 64
	v_add_nc_u64_e32 v[2:3], 0x200, v[2:3]
	v_cmp_ge_i64_e64 s16, s[8:9], s[4:5]
	s_and_b32 vcc_lo, exec_lo, s16
	s_cbranch_vccnz .LBB38_25
.LBB38_8:                               ; =>This Loop Header: Depth=1
                                        ;     Child Loop BB38_10 Depth 2
                                        ;     Child Loop BB38_24 Depth 2
	v_mov_b64_e32 v[4:5], 0
	s_and_saveexec_b32 s20, s1
	s_cbranch_execz .LBB38_12
; %bb.9:                                ;   in Loop: Header=BB38_8 Depth=1
	v_dual_mov_b32 v4, 0 :: v_dual_mov_b32 v6, v13
	v_dual_mov_b32 v7, v12 :: v_dual_mov_b32 v8, v0
	s_lshl_b64 s[16:17], s[8:9], 3
	s_delay_alu instid0(VALU_DEP_2)
	v_mov_b32_e32 v5, v4
	s_add_nc_u64 s[16:17], s[10:11], s[16:17]
	s_mov_b32 s21, 0
.LBB38_10:                              ;   Parent Loop BB38_8 Depth=1
                                        ; =>  This Inner Loop Header: Depth=2
	flat_load_b64 v[10:11], v6, s[16:17] scale_offset
	ds_load_b64 v[26:27], v7
	v_add_nc_u32_e32 v7, 0x1000, v7
	s_wait_xcnt 0x0
	v_add_nc_u32_e32 v6, s19, v6
	s_wait_loadcnt_dscnt 0x0
	v_pk_mul_f32 v[28:29], v[10:11], v[26:27] op_sel:[1,1] op_sel_hi:[0,1]
	s_delay_alu instid0(VALU_DEP_1) | instskip(SKIP_2) | instid1(VALU_DEP_3)
	v_pk_fma_f32 v[30:31], v[10:11], v[26:27], v[28:29] op_sel_hi:[1,0,1]
	v_add_nc_u32_e32 v8, 0x200, v8
	v_pk_fma_f32 v[10:11], v[10:11], v[26:27], v[28:29] neg_lo:[0,0,1] neg_hi:[0,0,1]
	v_mov_b32_e32 v11, v31
	s_delay_alu instid0(VALU_DEP_3) | instskip(NEXT) | instid1(VALU_DEP_2)
	v_cmp_le_i32_e32 vcc_lo, s6, v8
	v_pk_add_f32 v[4:5], v[4:5], v[10:11]
	s_or_b32 s21, vcc_lo, s21
	s_delay_alu instid0(SALU_CYCLE_1)
	s_and_not1_b32 exec_lo, exec_lo, s21
	s_cbranch_execnz .LBB38_10
; %bb.11:                               ;   in Loop: Header=BB38_8 Depth=1
	s_or_b32 exec_lo, exec_lo, s21
.LBB38_12:                              ;   in Loop: Header=BB38_8 Depth=1
	s_delay_alu instid0(SALU_CYCLE_1) | instskip(NEXT) | instid1(SALU_CYCLE_1)
	s_or_b32 exec_lo, exec_lo, s20
	s_and_b32 vcc_lo, exec_lo, s18
	s_cbranch_vccz .LBB38_19
; %bb.13:                               ;   in Loop: Header=BB38_8 Depth=1
	v_cmp_ne_u32_e32 vcc_lo, 31, v14
	v_add_co_ci_u32_e64 v6, null, 0, v14, vcc_lo
	v_cmp_gt_u32_e32 vcc_lo, 30, v14
	s_delay_alu instid0(VALU_DEP_2)
	v_lshlrev_b32_e32 v7, 2, v6
	v_cndmask_b32_e64 v8, 0, 2, vcc_lo
	v_cmp_gt_u32_e32 vcc_lo, 28, v14
	ds_bpermute_b32 v6, v7, v4
	ds_bpermute_b32 v7, v7, v5
	v_add_lshl_u32 v9, v8, v14, 2
	v_cndmask_b32_e64 v10, 0, 4, vcc_lo
	v_cmp_gt_u32_e32 vcc_lo, 24, v14
	s_delay_alu instid0(VALU_DEP_2)
	v_add_lshl_u32 v10, v10, v14, 2
	s_wait_dscnt 0x0
	v_pk_add_f32 v[6:7], v[4:5], v[6:7]
	ds_bpermute_b32 v8, v9, v6
	ds_bpermute_b32 v9, v9, v7
	s_wait_dscnt 0x0
	v_pk_add_f32 v[6:7], v[6:7], v[8:9]
	ds_bpermute_b32 v8, v10, v6
	ds_bpermute_b32 v9, v10, v7
	v_cndmask_b32_e64 v10, 0, 8, vcc_lo
	s_delay_alu instid0(VALU_DEP_1)
	v_add_lshl_u32 v10, v10, v14, 2
	s_wait_dscnt 0x0
	v_pk_add_f32 v[6:7], v[6:7], v[8:9]
	ds_bpermute_b32 v8, v10, v6
	ds_bpermute_b32 v9, v10, v7
	s_wait_dscnt 0x0
	v_pk_add_f32 v[6:7], v[6:7], v[8:9]
	ds_bpermute_b32 v8, v22, v6
	ds_bpermute_b32 v9, v22, v7
	s_wait_dscnt 0x0
	v_pk_add_f32 v[6:7], v[6:7], v[8:9]
	s_and_saveexec_b32 s16, s3
; %bb.14:                               ;   in Loop: Header=BB38_8 Depth=1
	ds_store_2addr_b32 v23, v6, v7 offset1:1
; %bb.15:                               ;   in Loop: Header=BB38_8 Depth=1
	s_or_b32 exec_lo, exec_lo, s16
	s_mov_b32 s17, 0
	s_mov_b32 s16, 0
	s_wait_dscnt 0x0
	s_barrier_signal -1
	s_barrier_wait -1
                                        ; implicit-def: $vgpr8_vgpr9
	s_and_saveexec_b32 s20, s2
	s_delay_alu instid0(SALU_CYCLE_1)
	s_xor_b32 s20, exec_lo, s20
	s_cbranch_execz .LBB38_17
; %bb.16:                               ;   in Loop: Header=BB38_8 Depth=1
	ds_load_2addr_b64 v[8:11], v15 offset1:1
	ds_load_2addr_b64 v[26:29], v16 offset1:1
	;; [unrolled: 1-line block ×3, first 2 shown]
	s_mov_b32 s16, exec_lo
	s_wait_dscnt 0x2
	v_pk_add_f32 v[6:7], v[6:7], v[8:9]
	s_delay_alu instid0(VALU_DEP_1) | instskip(SKIP_3) | instid1(VALU_DEP_1)
	v_pk_add_f32 v[10:11], v[6:7], v[10:11]
	ds_load_2addr_b64 v[6:9], v18 offset1:1
	s_wait_dscnt 0x2
	v_pk_add_f32 v[10:11], v[10:11], v[26:27]
	v_pk_add_f32 v[10:11], v[10:11], v[28:29]
	ds_load_2addr_b64 v[26:29], v19 offset1:1
	s_wait_dscnt 0x2
	v_pk_add_f32 v[10:11], v[10:11], v[30:31]
	s_delay_alu instid0(VALU_DEP_1) | instskip(SKIP_3) | instid1(VALU_DEP_1)
	v_pk_add_f32 v[10:11], v[10:11], v[32:33]
	ds_load_2addr_b64 v[30:33], v20 offset1:1
	s_wait_dscnt 0x2
	v_pk_add_f32 v[6:7], v[10:11], v[6:7]
	v_pk_add_f32 v[6:7], v[6:7], v[8:9]
	s_wait_dscnt 0x1
	s_delay_alu instid0(VALU_DEP_1) | instskip(SKIP_4) | instid1(VALU_DEP_1)
	v_pk_add_f32 v[10:11], v[6:7], v[26:27]
	ds_load_2addr_b64 v[6:9], v21 offset1:1
	ds_load_b64 v[26:27], v24 offset:16504
	v_pk_add_f32 v[10:11], v[10:11], v[28:29]
	s_wait_dscnt 0x2
	v_pk_add_f32 v[10:11], v[10:11], v[30:31]
	s_delay_alu instid0(VALU_DEP_1) | instskip(SKIP_1) | instid1(VALU_DEP_1)
	v_pk_add_f32 v[10:11], v[10:11], v[32:33]
	s_wait_dscnt 0x1
	v_pk_add_f32 v[6:7], v[10:11], v[6:7]
	s_delay_alu instid0(VALU_DEP_1) | instskip(SKIP_1) | instid1(VALU_DEP_1)
	v_pk_add_f32 v[6:7], v[6:7], v[8:9]
	s_wait_dscnt 0x0
	v_pk_add_f32 v[8:9], v[6:7], v[26:27]
.LBB38_17:                              ;   in Loop: Header=BB38_8 Depth=1
	s_or_b32 exec_lo, exec_lo, s20
	s_delay_alu instid0(SALU_CYCLE_1)
	s_and_b32 vcc_lo, exec_lo, s17
	s_cbranch_vccnz .LBB38_20
.LBB38_18:                              ;   in Loop: Header=BB38_8 Depth=1
	s_delay_alu instid0(VALU_DEP_1)
	v_mov_b64_e32 v[4:5], v[8:9]
	s_and_saveexec_b32 s17, s16
	s_cbranch_execnz .LBB38_21
	s_branch .LBB38_22
.LBB38_19:                              ;   in Loop: Header=BB38_8 Depth=1
	s_mov_b32 s16, 0
                                        ; implicit-def: $vgpr8_vgpr9
	s_cbranch_execz .LBB38_18
.LBB38_20:                              ;   in Loop: Header=BB38_8 Depth=1
	s_and_not1_b32 s16, s16, exec_lo
	s_and_b32 s17, s2, exec_lo
	s_delay_alu instid0(SALU_CYCLE_1) | instskip(NEXT) | instid1(SALU_CYCLE_1)
	s_or_b32 s16, s16, s17
	s_and_saveexec_b32 s17, s16
.LBB38_21:                              ;   in Loop: Header=BB38_8 Depth=1
	ds_store_b64 v24, v[4:5] offset:16384
.LBB38_22:                              ;   in Loop: Header=BB38_8 Depth=1
	s_or_b32 exec_lo, exec_lo, s17
	s_wait_dscnt 0x0
	s_barrier_signal -1
	s_barrier_wait -1
	s_and_saveexec_b32 s16, s0
	s_cbranch_execz .LBB38_7
; %bb.23:                               ;   in Loop: Header=BB38_8 Depth=1
	global_load_b64 v[4:5], v24, s[12:13]
	ds_load_b64 v[8:9], v24 offset:16384
	s_mov_b32 s17, 0
	s_wait_loadcnt_dscnt 0x0
	v_dual_mul_f32 v6, v4, v9 :: v_dual_mul_f32 v7, v4, v8
	v_xor_b32_e32 v10, 0x80000000, v5
	s_delay_alu instid0(VALU_DEP_2) | instskip(NEXT) | instid1(VALU_DEP_3)
	v_xor_b32_e32 v4, 0x80000000, v6
	v_xor_b32_e32 v6, 0x80000000, v7
	s_delay_alu instid0(VALU_DEP_1) | instskip(SKIP_2) | instid1(VALU_DEP_3)
	v_dual_fmac_f32 v4, v8, v10 :: v_dual_fmac_f32 v6, v5, v9
	v_mov_b64_e32 v[8:9], v[2:3]
	v_mov_b64_e32 v[10:11], v[0:1]
	v_dual_mov_b32 v25, v12 :: v_dual_mov_b32 v5, v4
	s_delay_alu instid0(VALU_DEP_4)
	v_mov_b32_e32 v7, v6
.LBB38_24:                              ;   Parent Loop BB38_8 Depth=1
                                        ; =>  This Inner Loop Header: Depth=2
	flat_load_b64 v[26:27], v[8:9]
	ds_load_b64 v[28:29], v25
	v_add_nc_u64_e32 v[10:11], 0x200, v[10:11]
	v_add_nc_u32_e32 v25, 0x1000, v25
	s_delay_alu instid0(VALU_DEP_2) | instskip(SKIP_3) | instid1(VALU_DEP_1)
	v_cmp_le_i64_e32 vcc_lo, s[6:7], v[10:11]
	s_or_b32 s17, vcc_lo, s17
	s_wait_dscnt 0x0
	v_pk_mul_f32 v[30:31], v[6:7], v[28:29]
	v_pk_fma_f32 v[32:33], v[4:5], v[28:29], v[30:31] op_sel:[0,1,0] op_sel_hi:[1,0,1] neg_lo:[0,0,1] neg_hi:[0,0,1]
	v_pk_fma_f32 v[28:29], v[4:5], v[28:29], v[30:31] op_sel:[0,1,0] op_sel_hi:[1,0,1]
	s_delay_alu instid0(VALU_DEP_2) | instskip(SKIP_1) | instid1(VALU_DEP_1)
	v_mov_b32_e32 v29, v33
	s_wait_loadcnt 0x0
	v_pk_add_f32 v[26:27], v[26:27], v[28:29]
	flat_store_b64 v[8:9], v[26:27]
	s_wait_xcnt 0x0
	v_add_nc_u64_e32 v[8:9], s[14:15], v[8:9]
	s_and_not1_b32 exec_lo, exec_lo, s17
	s_cbranch_execnz .LBB38_24
	s_branch .LBB38_7
.LBB38_25:
	s_endpgm
	.section	.rodata,"a",@progbits
	.p2align	6, 0x0
	.amdhsa_kernel _ZN9rocsolver6v33100L23larf_right_kernel_smallILi512E19rocblas_complex_numIfElPKPS3_EEvT1_S7_T2_lS7_lPKT0_lS8_lS7_l
		.amdhsa_group_segment_fixed_size 16512
		.amdhsa_private_segment_fixed_size 0
		.amdhsa_kernarg_size 96
		.amdhsa_user_sgpr_count 2
		.amdhsa_user_sgpr_dispatch_ptr 0
		.amdhsa_user_sgpr_queue_ptr 0
		.amdhsa_user_sgpr_kernarg_segment_ptr 1
		.amdhsa_user_sgpr_dispatch_id 0
		.amdhsa_user_sgpr_kernarg_preload_length 0
		.amdhsa_user_sgpr_kernarg_preload_offset 0
		.amdhsa_user_sgpr_private_segment_size 0
		.amdhsa_wavefront_size32 1
		.amdhsa_uses_dynamic_stack 0
		.amdhsa_enable_private_segment 0
		.amdhsa_system_sgpr_workgroup_id_x 1
		.amdhsa_system_sgpr_workgroup_id_y 1
		.amdhsa_system_sgpr_workgroup_id_z 0
		.amdhsa_system_sgpr_workgroup_info 0
		.amdhsa_system_vgpr_workitem_id 0
		.amdhsa_next_free_vgpr 34
		.amdhsa_next_free_sgpr 27
		.amdhsa_named_barrier_count 0
		.amdhsa_reserve_vcc 1
		.amdhsa_float_round_mode_32 0
		.amdhsa_float_round_mode_16_64 0
		.amdhsa_float_denorm_mode_32 3
		.amdhsa_float_denorm_mode_16_64 3
		.amdhsa_fp16_overflow 0
		.amdhsa_memory_ordered 1
		.amdhsa_forward_progress 1
		.amdhsa_inst_pref_size 13
		.amdhsa_round_robin_scheduling 0
		.amdhsa_exception_fp_ieee_invalid_op 0
		.amdhsa_exception_fp_denorm_src 0
		.amdhsa_exception_fp_ieee_div_zero 0
		.amdhsa_exception_fp_ieee_overflow 0
		.amdhsa_exception_fp_ieee_underflow 0
		.amdhsa_exception_fp_ieee_inexact 0
		.amdhsa_exception_int_div_zero 0
	.end_amdhsa_kernel
	.section	.text._ZN9rocsolver6v33100L23larf_right_kernel_smallILi512E19rocblas_complex_numIfElPKPS3_EEvT1_S7_T2_lS7_lPKT0_lS8_lS7_l,"axG",@progbits,_ZN9rocsolver6v33100L23larf_right_kernel_smallILi512E19rocblas_complex_numIfElPKPS3_EEvT1_S7_T2_lS7_lPKT0_lS8_lS7_l,comdat
.Lfunc_end38:
	.size	_ZN9rocsolver6v33100L23larf_right_kernel_smallILi512E19rocblas_complex_numIfElPKPS3_EEvT1_S7_T2_lS7_lPKT0_lS8_lS7_l, .Lfunc_end38-_ZN9rocsolver6v33100L23larf_right_kernel_smallILi512E19rocblas_complex_numIfElPKPS3_EEvT1_S7_T2_lS7_lPKT0_lS8_lS7_l
                                        ; -- End function
	.set _ZN9rocsolver6v33100L23larf_right_kernel_smallILi512E19rocblas_complex_numIfElPKPS3_EEvT1_S7_T2_lS7_lPKT0_lS8_lS7_l.num_vgpr, 34
	.set _ZN9rocsolver6v33100L23larf_right_kernel_smallILi512E19rocblas_complex_numIfElPKPS3_EEvT1_S7_T2_lS7_lPKT0_lS8_lS7_l.num_agpr, 0
	.set _ZN9rocsolver6v33100L23larf_right_kernel_smallILi512E19rocblas_complex_numIfElPKPS3_EEvT1_S7_T2_lS7_lPKT0_lS8_lS7_l.numbered_sgpr, 27
	.set _ZN9rocsolver6v33100L23larf_right_kernel_smallILi512E19rocblas_complex_numIfElPKPS3_EEvT1_S7_T2_lS7_lPKT0_lS8_lS7_l.num_named_barrier, 0
	.set _ZN9rocsolver6v33100L23larf_right_kernel_smallILi512E19rocblas_complex_numIfElPKPS3_EEvT1_S7_T2_lS7_lPKT0_lS8_lS7_l.private_seg_size, 0
	.set _ZN9rocsolver6v33100L23larf_right_kernel_smallILi512E19rocblas_complex_numIfElPKPS3_EEvT1_S7_T2_lS7_lPKT0_lS8_lS7_l.uses_vcc, 1
	.set _ZN9rocsolver6v33100L23larf_right_kernel_smallILi512E19rocblas_complex_numIfElPKPS3_EEvT1_S7_T2_lS7_lPKT0_lS8_lS7_l.uses_flat_scratch, 0
	.set _ZN9rocsolver6v33100L23larf_right_kernel_smallILi512E19rocblas_complex_numIfElPKPS3_EEvT1_S7_T2_lS7_lPKT0_lS8_lS7_l.has_dyn_sized_stack, 0
	.set _ZN9rocsolver6v33100L23larf_right_kernel_smallILi512E19rocblas_complex_numIfElPKPS3_EEvT1_S7_T2_lS7_lPKT0_lS8_lS7_l.has_recursion, 0
	.set _ZN9rocsolver6v33100L23larf_right_kernel_smallILi512E19rocblas_complex_numIfElPKPS3_EEvT1_S7_T2_lS7_lPKT0_lS8_lS7_l.has_indirect_call, 0
	.section	.AMDGPU.csdata,"",@progbits
; Kernel info:
; codeLenInByte = 1620
; TotalNumSgprs: 29
; NumVgprs: 34
; ScratchSize: 0
; MemoryBound: 0
; FloatMode: 240
; IeeeMode: 1
; LDSByteSize: 16512 bytes/workgroup (compile time only)
; SGPRBlocks: 0
; VGPRBlocks: 2
; NumSGPRsForWavesPerEU: 29
; NumVGPRsForWavesPerEU: 34
; NamedBarCnt: 0
; Occupancy: 16
; WaveLimiterHint : 1
; COMPUTE_PGM_RSRC2:SCRATCH_EN: 0
; COMPUTE_PGM_RSRC2:USER_SGPR: 2
; COMPUTE_PGM_RSRC2:TRAP_HANDLER: 0
; COMPUTE_PGM_RSRC2:TGID_X_EN: 1
; COMPUTE_PGM_RSRC2:TGID_Y_EN: 1
; COMPUTE_PGM_RSRC2:TGID_Z_EN: 0
; COMPUTE_PGM_RSRC2:TIDIG_COMP_CNT: 0
	.section	.text._ZN9rocsolver6v33100L23larf_right_kernel_smallILi1024E19rocblas_complex_numIfElPKPS3_EEvT1_S7_T2_lS7_lPKT0_lS8_lS7_l,"axG",@progbits,_ZN9rocsolver6v33100L23larf_right_kernel_smallILi1024E19rocblas_complex_numIfElPKPS3_EEvT1_S7_T2_lS7_lPKT0_lS8_lS7_l,comdat
	.globl	_ZN9rocsolver6v33100L23larf_right_kernel_smallILi1024E19rocblas_complex_numIfElPKPS3_EEvT1_S7_T2_lS7_lPKT0_lS8_lS7_l ; -- Begin function _ZN9rocsolver6v33100L23larf_right_kernel_smallILi1024E19rocblas_complex_numIfElPKPS3_EEvT1_S7_T2_lS7_lPKT0_lS8_lS7_l
	.p2align	8
	.type	_ZN9rocsolver6v33100L23larf_right_kernel_smallILi1024E19rocblas_complex_numIfElPKPS3_EEvT1_S7_T2_lS7_lPKT0_lS8_lS7_l,@function
_ZN9rocsolver6v33100L23larf_right_kernel_smallILi1024E19rocblas_complex_numIfElPKPS3_EEvT1_S7_T2_lS7_lPKT0_lS8_lS7_l: ; @_ZN9rocsolver6v33100L23larf_right_kernel_smallILi1024E19rocblas_complex_numIfElPKPS3_EEvT1_S7_T2_lS7_lPKT0_lS8_lS7_l
; %bb.0:
	s_clause 0x3
	s_load_b64 s[22:23], s[0:1], 0x20
	s_load_b256 s[4:11], s[0:1], 0x0
	s_load_b256 s[12:19], s[0:1], 0x30
	s_load_b64 s[20:21], s[0:1], 0x50
	s_wait_xcnt 0x0
	s_bfe_u32 s0, ttmp6, 0x4000c
	s_and_b32 s2, ttmp6, 15
	s_add_co_i32 s0, s0, 1
	s_getreg_b32 s1, hwreg(HW_REG_IB_STS2, 6, 4)
	s_mul_i32 s0, ttmp9, s0
	s_mov_b32 s3, 0
	s_add_co_i32 s2, s2, s0
	s_cmp_eq_u32 s1, 0
	s_cselect_b32 s2, ttmp9, s2
	s_wait_kmcnt 0x0
	v_cmp_gt_i64_e64 s24, s[22:23], 0
	s_and_b32 vcc_lo, exec_lo, s24
	s_mov_b64 s[24:25], 0
	s_cbranch_vccnz .LBB39_2
; %bb.1:
	s_sub_nc_u64 s[24:25], 1, s[6:7]
	s_delay_alu instid0(SALU_CYCLE_1)
	s_mul_u64 s[24:25], s[22:23], s[24:25]
.LBB39_2:
	s_load_b64 s[16:17], s[16:17], s2 offset:0x0 scale_offset
	v_dual_mov_b32 v1, 0 :: v_dual_lshlrev_b32 v12, 3, v0
	s_delay_alu instid0(VALU_DEP_1)
	v_cmp_gt_i64_e64 s0, s[6:7], v[0:1]
	s_and_saveexec_b32 s26, s0
	s_cbranch_execz .LBB39_5
; %bb.3:
	v_mul_u64_e32 v[2:3], s[22:23], v[0:1]
	s_load_b64 s[8:9], s[8:9], s2 offset:0x0 scale_offset
	s_lshl_b64 s[10:11], s[10:11], 3
	s_lshl_b64 s[24:25], s[24:25], 3
	v_mov_b64_e32 v[4:5], v[0:1]
	v_lshlrev_b32_e32 v6, 3, v0
	s_wait_kmcnt 0x0
	s_add_nc_u64 s[8:9], s[8:9], s[10:11]
	s_mov_b32 s10, 0
	s_add_nc_u64 s[8:9], s[8:9], s[24:25]
	s_delay_alu instid0(VALU_DEP_3) | instid1(SALU_CYCLE_1)
	v_lshl_add_u64 v[2:3], v[2:3], 3, s[8:9]
	s_lshl_b64 s[8:9], s[22:23], 13
.LBB39_4:                               ; =>This Inner Loop Header: Depth=1
	flat_load_b64 v[8:9], v[2:3]
	v_add_nc_u64_e32 v[4:5], 0x400, v[4:5]
	s_wait_xcnt 0x0
	v_add_nc_u64_e32 v[2:3], s[8:9], v[2:3]
	s_delay_alu instid0(VALU_DEP_2)
	v_cmp_le_i64_e32 vcc_lo, s[6:7], v[4:5]
	s_or_b32 s10, vcc_lo, s10
	s_wait_loadcnt_dscnt 0x0
	ds_store_b64 v6, v[8:9]
	v_add_nc_u32_e32 v6, 0x2000, v6
	s_and_not1_b32 exec_lo, exec_lo, s10
	s_cbranch_execnz .LBB39_4
.LBB39_5:
	s_or_b32 exec_lo, exec_lo, s26
	s_bfe_u32 s8, ttmp6, 0x40010
	s_bfe_u32 s9, ttmp6, 0x40004
	s_add_co_i32 s8, s8, 1
	s_wait_dscnt 0x0
	s_mul_i32 s8, ttmp7, s8
	s_barrier_signal -1
	s_add_co_i32 s8, s9, s8
	s_cmp_eq_u32 s1, 0
	s_mov_b32 s9, 0
	s_cselect_b32 s8, ttmp7, s8
	s_barrier_wait -1
	v_cmp_le_i64_e64 s1, s[4:5], s[8:9]
	s_and_b32 vcc_lo, exec_lo, s1
	s_cbranch_vccnz .LBB39_25
; %bb.6:
	v_mul_u64_e32 v[2:3], s[20:21], v[0:1]
	s_mul_u64 s[10:11], s[14:15], s[2:3]
	s_lshl_b64 s[22:23], s[18:19], 3
	s_lshl_b64 s[14:15], s[10:11], 3
	s_cmp_gt_i32 s6, 1
	v_mul_lo_u32 v13, v0, s20
	s_cselect_b32 s18, -1, 0
	s_lshl_b64 s[24:25], s[8:9], 3
	v_dual_lshrrev_b32 v5, 2, v0 :: v_dual_bitop2_b32 v4, 31, v0 bitop3:0x40
	v_mbcnt_lo_u32_b32 v14, -1, 0
	s_wait_kmcnt 0x0
	s_add_nc_u64 s[10:11], s[16:17], s[22:23]
	s_add_nc_u64 s[16:17], s[16:17], s[24:25]
	v_cmp_gt_i32_e64 s1, s6, v0
	s_add_nc_u64 s[16:17], s[16:17], s[22:23]
	v_cmp_eq_u32_e64 s2, 0, v0
	v_dual_mov_b32 v15, 0x4008 :: v_dual_mov_b32 v32, 0
	v_mov_b32_e32 v16, 0x4018
	v_mov_b32_e32 v17, 0x4028
	;; [unrolled: 1-line block ×12, first 2 shown]
	v_cmp_eq_u32_e64 s3, 0, v4
	v_lshl_or_b32 v28, v14, 2, 64
	v_or_b32_e32 v29, 0x4000, v5
	v_lshl_add_u64 v[2:3], v[2:3], 3, s[16:17]
	v_mov_b32_e32 v30, 0x40d8
	v_mov_b32_e32 v31, 0x40e8
	s_add_nc_u64 s[12:13], s[12:13], s[14:15]
	s_lshl_b32 s19, s20, 10
	s_lshl_b64 s[14:15], s[20:21], 13
	s_branch .LBB39_8
.LBB39_7:                               ;   in Loop: Header=BB39_8 Depth=1
	s_or_b32 exec_lo, exec_lo, s16
	s_add_nc_u64 s[8:9], s[8:9], 64
	v_add_nc_u64_e32 v[2:3], 0x200, v[2:3]
	v_cmp_ge_i64_e64 s16, s[8:9], s[4:5]
	s_and_b32 vcc_lo, exec_lo, s16
	s_cbranch_vccnz .LBB39_25
.LBB39_8:                               ; =>This Loop Header: Depth=1
                                        ;     Child Loop BB39_10 Depth 2
                                        ;     Child Loop BB39_24 Depth 2
	v_mov_b64_e32 v[4:5], 0
	s_and_saveexec_b32 s20, s1
	s_cbranch_execz .LBB39_12
; %bb.9:                                ;   in Loop: Header=BB39_8 Depth=1
	v_dual_mov_b32 v4, 0 :: v_dual_mov_b32 v6, v13
	v_dual_mov_b32 v7, v12 :: v_dual_mov_b32 v8, v0
	s_lshl_b64 s[16:17], s[8:9], 3
	s_delay_alu instid0(VALU_DEP_2)
	v_mov_b32_e32 v5, v4
	s_add_nc_u64 s[16:17], s[10:11], s[16:17]
	s_mov_b32 s21, 0
.LBB39_10:                              ;   Parent Loop BB39_8 Depth=1
                                        ; =>  This Inner Loop Header: Depth=2
	flat_load_b64 v[10:11], v6, s[16:17] scale_offset
	ds_load_b64 v[34:35], v7
	v_add_nc_u32_e32 v7, 0x2000, v7
	s_wait_xcnt 0x0
	v_add_nc_u32_e32 v6, s19, v6
	s_wait_loadcnt_dscnt 0x0
	v_pk_mul_f32 v[36:37], v[10:11], v[34:35] op_sel:[1,1] op_sel_hi:[0,1]
	s_delay_alu instid0(VALU_DEP_1) | instskip(SKIP_2) | instid1(VALU_DEP_3)
	v_pk_fma_f32 v[38:39], v[10:11], v[34:35], v[36:37] op_sel_hi:[1,0,1]
	v_add_nc_u32_e32 v8, 0x400, v8
	v_pk_fma_f32 v[10:11], v[10:11], v[34:35], v[36:37] neg_lo:[0,0,1] neg_hi:[0,0,1]
	v_mov_b32_e32 v11, v39
	s_delay_alu instid0(VALU_DEP_3) | instskip(NEXT) | instid1(VALU_DEP_2)
	v_cmp_le_i32_e32 vcc_lo, s6, v8
	v_pk_add_f32 v[4:5], v[4:5], v[10:11]
	s_or_b32 s21, vcc_lo, s21
	s_delay_alu instid0(SALU_CYCLE_1)
	s_and_not1_b32 exec_lo, exec_lo, s21
	s_cbranch_execnz .LBB39_10
; %bb.11:                               ;   in Loop: Header=BB39_8 Depth=1
	s_or_b32 exec_lo, exec_lo, s21
.LBB39_12:                              ;   in Loop: Header=BB39_8 Depth=1
	s_delay_alu instid0(SALU_CYCLE_1) | instskip(NEXT) | instid1(SALU_CYCLE_1)
	s_or_b32 exec_lo, exec_lo, s20
	s_and_b32 vcc_lo, exec_lo, s18
	s_cbranch_vccz .LBB39_19
; %bb.13:                               ;   in Loop: Header=BB39_8 Depth=1
	v_cmp_ne_u32_e32 vcc_lo, 31, v14
	v_add_co_ci_u32_e64 v6, null, 0, v14, vcc_lo
	v_cmp_gt_u32_e32 vcc_lo, 30, v14
	s_delay_alu instid0(VALU_DEP_2)
	v_lshlrev_b32_e32 v7, 2, v6
	v_cndmask_b32_e64 v8, 0, 2, vcc_lo
	v_cmp_gt_u32_e32 vcc_lo, 28, v14
	ds_bpermute_b32 v6, v7, v4
	ds_bpermute_b32 v7, v7, v5
	v_add_lshl_u32 v9, v8, v14, 2
	v_cndmask_b32_e64 v10, 0, 4, vcc_lo
	v_cmp_gt_u32_e32 vcc_lo, 24, v14
	s_delay_alu instid0(VALU_DEP_2)
	v_add_lshl_u32 v10, v10, v14, 2
	s_wait_dscnt 0x0
	v_pk_add_f32 v[6:7], v[4:5], v[6:7]
	ds_bpermute_b32 v8, v9, v6
	ds_bpermute_b32 v9, v9, v7
	s_wait_dscnt 0x0
	v_pk_add_f32 v[6:7], v[6:7], v[8:9]
	ds_bpermute_b32 v8, v10, v6
	ds_bpermute_b32 v9, v10, v7
	v_cndmask_b32_e64 v10, 0, 8, vcc_lo
	s_delay_alu instid0(VALU_DEP_1)
	v_add_lshl_u32 v10, v10, v14, 2
	s_wait_dscnt 0x0
	v_pk_add_f32 v[6:7], v[6:7], v[8:9]
	ds_bpermute_b32 v8, v10, v6
	ds_bpermute_b32 v9, v10, v7
	s_wait_dscnt 0x0
	v_pk_add_f32 v[6:7], v[6:7], v[8:9]
	ds_bpermute_b32 v8, v28, v6
	ds_bpermute_b32 v9, v28, v7
	s_wait_dscnt 0x0
	v_pk_add_f32 v[6:7], v[6:7], v[8:9]
	s_and_saveexec_b32 s16, s3
; %bb.14:                               ;   in Loop: Header=BB39_8 Depth=1
	ds_store_2addr_b32 v29, v6, v7 offset1:1
; %bb.15:                               ;   in Loop: Header=BB39_8 Depth=1
	s_or_b32 exec_lo, exec_lo, s16
	s_mov_b32 s17, 0
	s_mov_b32 s16, 0
	s_wait_dscnt 0x0
	s_barrier_signal -1
	s_barrier_wait -1
                                        ; implicit-def: $vgpr8_vgpr9
	s_and_saveexec_b32 s20, s2
	s_delay_alu instid0(SALU_CYCLE_1)
	s_xor_b32 s20, exec_lo, s20
	s_cbranch_execz .LBB39_17
; %bb.16:                               ;   in Loop: Header=BB39_8 Depth=1
	ds_load_2addr_b64 v[8:11], v15 offset1:1
	ds_load_2addr_b64 v[34:37], v16 offset1:1
	;; [unrolled: 1-line block ×3, first 2 shown]
	s_mov_b32 s16, exec_lo
	s_wait_dscnt 0x2
	v_pk_add_f32 v[6:7], v[6:7], v[8:9]
	s_delay_alu instid0(VALU_DEP_1) | instskip(SKIP_3) | instid1(VALU_DEP_1)
	v_pk_add_f32 v[10:11], v[6:7], v[10:11]
	ds_load_2addr_b64 v[6:9], v18 offset1:1
	s_wait_dscnt 0x2
	v_pk_add_f32 v[10:11], v[10:11], v[34:35]
	v_pk_add_f32 v[10:11], v[10:11], v[36:37]
	ds_load_2addr_b64 v[34:37], v19 offset1:1
	s_wait_dscnt 0x2
	v_pk_add_f32 v[10:11], v[10:11], v[38:39]
	s_delay_alu instid0(VALU_DEP_1) | instskip(SKIP_3) | instid1(VALU_DEP_1)
	v_pk_add_f32 v[10:11], v[10:11], v[40:41]
	ds_load_2addr_b64 v[38:41], v20 offset1:1
	s_wait_dscnt 0x2
	v_pk_add_f32 v[6:7], v[10:11], v[6:7]
	v_pk_add_f32 v[10:11], v[6:7], v[8:9]
	ds_load_2addr_b64 v[6:9], v21 offset1:1
	;; [unrolled: 9-line block ×6, first 2 shown]
	s_wait_dscnt 0x2
	v_pk_add_f32 v[6:7], v[10:11], v[6:7]
	s_delay_alu instid0(VALU_DEP_1) | instskip(SKIP_3) | instid1(VALU_DEP_1)
	v_pk_add_f32 v[6:7], v[6:7], v[8:9]
	ds_load_b64 v[8:9], v32 offset:16632
	s_wait_dscnt 0x2
	v_pk_add_f32 v[6:7], v[6:7], v[34:35]
	v_pk_add_f32 v[6:7], v[6:7], v[36:37]
	s_wait_dscnt 0x1
	s_delay_alu instid0(VALU_DEP_1) | instskip(NEXT) | instid1(VALU_DEP_1)
	v_pk_add_f32 v[6:7], v[6:7], v[38:39]
	v_pk_add_f32 v[6:7], v[6:7], v[40:41]
	s_wait_dscnt 0x0
	s_delay_alu instid0(VALU_DEP_1)
	v_pk_add_f32 v[8:9], v[6:7], v[8:9]
.LBB39_17:                              ;   in Loop: Header=BB39_8 Depth=1
	s_or_b32 exec_lo, exec_lo, s20
	s_delay_alu instid0(SALU_CYCLE_1)
	s_and_b32 vcc_lo, exec_lo, s17
	s_cbranch_vccnz .LBB39_20
.LBB39_18:                              ;   in Loop: Header=BB39_8 Depth=1
	s_delay_alu instid0(VALU_DEP_1)
	v_mov_b64_e32 v[4:5], v[8:9]
	s_and_saveexec_b32 s17, s16
	s_cbranch_execnz .LBB39_21
	s_branch .LBB39_22
.LBB39_19:                              ;   in Loop: Header=BB39_8 Depth=1
	s_mov_b32 s16, 0
                                        ; implicit-def: $vgpr8_vgpr9
	s_cbranch_execz .LBB39_18
.LBB39_20:                              ;   in Loop: Header=BB39_8 Depth=1
	s_and_not1_b32 s16, s16, exec_lo
	s_and_b32 s17, s2, exec_lo
	s_delay_alu instid0(SALU_CYCLE_1) | instskip(NEXT) | instid1(SALU_CYCLE_1)
	s_or_b32 s16, s16, s17
	s_and_saveexec_b32 s17, s16
.LBB39_21:                              ;   in Loop: Header=BB39_8 Depth=1
	ds_store_b64 v32, v[4:5] offset:16384
.LBB39_22:                              ;   in Loop: Header=BB39_8 Depth=1
	s_or_b32 exec_lo, exec_lo, s17
	s_wait_dscnt 0x0
	s_barrier_signal -1
	s_barrier_wait -1
	s_and_saveexec_b32 s16, s0
	s_cbranch_execz .LBB39_7
; %bb.23:                               ;   in Loop: Header=BB39_8 Depth=1
	global_load_b64 v[4:5], v32, s[12:13]
	ds_load_b64 v[8:9], v32 offset:16384
	s_mov_b32 s17, 0
	s_wait_loadcnt_dscnt 0x0
	v_dual_mul_f32 v6, v4, v9 :: v_dual_mul_f32 v7, v4, v8
	v_xor_b32_e32 v10, 0x80000000, v5
	s_delay_alu instid0(VALU_DEP_2) | instskip(NEXT) | instid1(VALU_DEP_3)
	v_xor_b32_e32 v4, 0x80000000, v6
	v_xor_b32_e32 v6, 0x80000000, v7
	s_delay_alu instid0(VALU_DEP_1) | instskip(SKIP_2) | instid1(VALU_DEP_3)
	v_dual_fmac_f32 v4, v8, v10 :: v_dual_fmac_f32 v6, v5, v9
	v_mov_b64_e32 v[8:9], v[2:3]
	v_mov_b64_e32 v[10:11], v[0:1]
	v_dual_mov_b32 v33, v12 :: v_dual_mov_b32 v5, v4
	s_delay_alu instid0(VALU_DEP_4)
	v_mov_b32_e32 v7, v6
.LBB39_24:                              ;   Parent Loop BB39_8 Depth=1
                                        ; =>  This Inner Loop Header: Depth=2
	flat_load_b64 v[34:35], v[8:9]
	ds_load_b64 v[36:37], v33
	v_add_nc_u64_e32 v[10:11], 0x400, v[10:11]
	v_add_nc_u32_e32 v33, 0x2000, v33
	s_delay_alu instid0(VALU_DEP_2) | instskip(SKIP_3) | instid1(VALU_DEP_1)
	v_cmp_le_i64_e32 vcc_lo, s[6:7], v[10:11]
	s_or_b32 s17, vcc_lo, s17
	s_wait_dscnt 0x0
	v_pk_mul_f32 v[38:39], v[6:7], v[36:37]
	v_pk_fma_f32 v[40:41], v[4:5], v[36:37], v[38:39] op_sel:[0,1,0] op_sel_hi:[1,0,1] neg_lo:[0,0,1] neg_hi:[0,0,1]
	v_pk_fma_f32 v[36:37], v[4:5], v[36:37], v[38:39] op_sel:[0,1,0] op_sel_hi:[1,0,1]
	s_delay_alu instid0(VALU_DEP_2) | instskip(SKIP_1) | instid1(VALU_DEP_1)
	v_mov_b32_e32 v37, v41
	s_wait_loadcnt 0x0
	v_pk_add_f32 v[34:35], v[34:35], v[36:37]
	flat_store_b64 v[8:9], v[34:35]
	s_wait_xcnt 0x0
	v_add_nc_u64_e32 v[8:9], s[14:15], v[8:9]
	s_and_not1_b32 exec_lo, exec_lo, s17
	s_cbranch_execnz .LBB39_24
	s_branch .LBB39_7
.LBB39_25:
	s_endpgm
	.section	.rodata,"a",@progbits
	.p2align	6, 0x0
	.amdhsa_kernel _ZN9rocsolver6v33100L23larf_right_kernel_smallILi1024E19rocblas_complex_numIfElPKPS3_EEvT1_S7_T2_lS7_lPKT0_lS8_lS7_l
		.amdhsa_group_segment_fixed_size 16640
		.amdhsa_private_segment_fixed_size 0
		.amdhsa_kernarg_size 96
		.amdhsa_user_sgpr_count 2
		.amdhsa_user_sgpr_dispatch_ptr 0
		.amdhsa_user_sgpr_queue_ptr 0
		.amdhsa_user_sgpr_kernarg_segment_ptr 1
		.amdhsa_user_sgpr_dispatch_id 0
		.amdhsa_user_sgpr_kernarg_preload_length 0
		.amdhsa_user_sgpr_kernarg_preload_offset 0
		.amdhsa_user_sgpr_private_segment_size 0
		.amdhsa_wavefront_size32 1
		.amdhsa_uses_dynamic_stack 0
		.amdhsa_enable_private_segment 0
		.amdhsa_system_sgpr_workgroup_id_x 1
		.amdhsa_system_sgpr_workgroup_id_y 1
		.amdhsa_system_sgpr_workgroup_id_z 0
		.amdhsa_system_sgpr_workgroup_info 0
		.amdhsa_system_vgpr_workitem_id 0
		.amdhsa_next_free_vgpr 42
		.amdhsa_next_free_sgpr 27
		.amdhsa_named_barrier_count 0
		.amdhsa_reserve_vcc 1
		.amdhsa_float_round_mode_32 0
		.amdhsa_float_round_mode_16_64 0
		.amdhsa_float_denorm_mode_32 3
		.amdhsa_float_denorm_mode_16_64 3
		.amdhsa_fp16_overflow 0
		.amdhsa_memory_ordered 1
		.amdhsa_forward_progress 1
		.amdhsa_inst_pref_size 16
		.amdhsa_round_robin_scheduling 0
		.amdhsa_exception_fp_ieee_invalid_op 0
		.amdhsa_exception_fp_denorm_src 0
		.amdhsa_exception_fp_ieee_div_zero 0
		.amdhsa_exception_fp_ieee_overflow 0
		.amdhsa_exception_fp_ieee_underflow 0
		.amdhsa_exception_fp_ieee_inexact 0
		.amdhsa_exception_int_div_zero 0
	.end_amdhsa_kernel
	.section	.text._ZN9rocsolver6v33100L23larf_right_kernel_smallILi1024E19rocblas_complex_numIfElPKPS3_EEvT1_S7_T2_lS7_lPKT0_lS8_lS7_l,"axG",@progbits,_ZN9rocsolver6v33100L23larf_right_kernel_smallILi1024E19rocblas_complex_numIfElPKPS3_EEvT1_S7_T2_lS7_lPKT0_lS8_lS7_l,comdat
.Lfunc_end39:
	.size	_ZN9rocsolver6v33100L23larf_right_kernel_smallILi1024E19rocblas_complex_numIfElPKPS3_EEvT1_S7_T2_lS7_lPKT0_lS8_lS7_l, .Lfunc_end39-_ZN9rocsolver6v33100L23larf_right_kernel_smallILi1024E19rocblas_complex_numIfElPKPS3_EEvT1_S7_T2_lS7_lPKT0_lS8_lS7_l
                                        ; -- End function
	.set _ZN9rocsolver6v33100L23larf_right_kernel_smallILi1024E19rocblas_complex_numIfElPKPS3_EEvT1_S7_T2_lS7_lPKT0_lS8_lS7_l.num_vgpr, 42
	.set _ZN9rocsolver6v33100L23larf_right_kernel_smallILi1024E19rocblas_complex_numIfElPKPS3_EEvT1_S7_T2_lS7_lPKT0_lS8_lS7_l.num_agpr, 0
	.set _ZN9rocsolver6v33100L23larf_right_kernel_smallILi1024E19rocblas_complex_numIfElPKPS3_EEvT1_S7_T2_lS7_lPKT0_lS8_lS7_l.numbered_sgpr, 27
	.set _ZN9rocsolver6v33100L23larf_right_kernel_smallILi1024E19rocblas_complex_numIfElPKPS3_EEvT1_S7_T2_lS7_lPKT0_lS8_lS7_l.num_named_barrier, 0
	.set _ZN9rocsolver6v33100L23larf_right_kernel_smallILi1024E19rocblas_complex_numIfElPKPS3_EEvT1_S7_T2_lS7_lPKT0_lS8_lS7_l.private_seg_size, 0
	.set _ZN9rocsolver6v33100L23larf_right_kernel_smallILi1024E19rocblas_complex_numIfElPKPS3_EEvT1_S7_T2_lS7_lPKT0_lS8_lS7_l.uses_vcc, 1
	.set _ZN9rocsolver6v33100L23larf_right_kernel_smallILi1024E19rocblas_complex_numIfElPKPS3_EEvT1_S7_T2_lS7_lPKT0_lS8_lS7_l.uses_flat_scratch, 0
	.set _ZN9rocsolver6v33100L23larf_right_kernel_smallILi1024E19rocblas_complex_numIfElPKPS3_EEvT1_S7_T2_lS7_lPKT0_lS8_lS7_l.has_dyn_sized_stack, 0
	.set _ZN9rocsolver6v33100L23larf_right_kernel_smallILi1024E19rocblas_complex_numIfElPKPS3_EEvT1_S7_T2_lS7_lPKT0_lS8_lS7_l.has_recursion, 0
	.set _ZN9rocsolver6v33100L23larf_right_kernel_smallILi1024E19rocblas_complex_numIfElPKPS3_EEvT1_S7_T2_lS7_lPKT0_lS8_lS7_l.has_indirect_call, 0
	.section	.AMDGPU.csdata,"",@progbits
; Kernel info:
; codeLenInByte = 1924
; TotalNumSgprs: 29
; NumVgprs: 42
; ScratchSize: 0
; MemoryBound: 0
; FloatMode: 240
; IeeeMode: 1
; LDSByteSize: 16640 bytes/workgroup (compile time only)
; SGPRBlocks: 0
; VGPRBlocks: 2
; NumSGPRsForWavesPerEU: 29
; NumVGPRsForWavesPerEU: 42
; NamedBarCnt: 0
; Occupancy: 16
; WaveLimiterHint : 1
; COMPUTE_PGM_RSRC2:SCRATCH_EN: 0
; COMPUTE_PGM_RSRC2:USER_SGPR: 2
; COMPUTE_PGM_RSRC2:TRAP_HANDLER: 0
; COMPUTE_PGM_RSRC2:TGID_X_EN: 1
; COMPUTE_PGM_RSRC2:TGID_Y_EN: 1
; COMPUTE_PGM_RSRC2:TGID_Z_EN: 0
; COMPUTE_PGM_RSRC2:TIDIG_COMP_CNT: 0
	.section	.AMDGPU.gpr_maximums,"",@progbits
	.set amdgpu.max_num_vgpr, 0
	.set amdgpu.max_num_agpr, 0
	.set amdgpu.max_num_sgpr, 0
	.section	.AMDGPU.csdata,"",@progbits
	.type	__hip_cuid_f89f0cbd142b8b9a,@object ; @__hip_cuid_f89f0cbd142b8b9a
	.section	.bss,"aw",@nobits
	.globl	__hip_cuid_f89f0cbd142b8b9a
__hip_cuid_f89f0cbd142b8b9a:
	.byte	0                               ; 0x0
	.size	__hip_cuid_f89f0cbd142b8b9a, 1

	.ident	"AMD clang version 22.0.0git (https://github.com/RadeonOpenCompute/llvm-project roc-7.2.4 26084 f58b06dce1f9c15707c5f808fd002e18c2accf7e)"
	.section	".note.GNU-stack","",@progbits
	.addrsig
	.addrsig_sym __hip_cuid_f89f0cbd142b8b9a
	.amdgpu_metadata
---
amdhsa.kernels:
  - .args:
      - .offset:         0
        .size:           4
        .value_kind:     by_value
      - .offset:         4
        .size:           4
        .value_kind:     by_value
      - .address_space:  global
        .offset:         8
        .size:           8
        .value_kind:     global_buffer
      - .offset:         16
        .size:           8
        .value_kind:     by_value
      - .offset:         24
        .size:           4
        .value_kind:     by_value
      - .offset:         32
        .size:           8
        .value_kind:     by_value
      - .address_space:  global
        .offset:         40
        .size:           8
        .value_kind:     global_buffer
      - .offset:         48
        .size:           8
        .value_kind:     by_value
      - .address_space:  global
        .offset:         56
        .size:           8
        .value_kind:     global_buffer
      - .offset:         64
        .size:           8
        .value_kind:     by_value
      - .offset:         72
        .size:           4
        .value_kind:     by_value
      - .offset:         80
        .size:           8
        .value_kind:     by_value
    .group_segment_fixed_size: 16896
    .kernarg_segment_align: 8
    .kernarg_segment_size: 88
    .language:       OpenCL C
    .language_version:
      - 2
      - 0
    .max_flat_workgroup_size: 64
    .name:           _ZN9rocsolver6v33100L22larf_left_kernel_smallILi64E19rocblas_complex_numIfEiPS3_EEvT1_S5_T2_lS5_lPKT0_lS6_lS5_l
    .private_segment_fixed_size: 0
    .sgpr_count:     37
    .sgpr_spill_count: 0
    .symbol:         _ZN9rocsolver6v33100L22larf_left_kernel_smallILi64E19rocblas_complex_numIfEiPS3_EEvT1_S5_T2_lS5_lPKT0_lS6_lS5_l.kd
    .uniform_work_group_size: 1
    .uses_dynamic_stack: false
    .vgpr_count:     39
    .vgpr_spill_count: 0
    .wavefront_size: 32
  - .args:
      - .offset:         0
        .size:           4
        .value_kind:     by_value
      - .offset:         4
        .size:           4
        .value_kind:     by_value
      - .address_space:  global
        .offset:         8
        .size:           8
        .value_kind:     global_buffer
      - .offset:         16
        .size:           8
        .value_kind:     by_value
      - .offset:         24
        .size:           4
        .value_kind:     by_value
      - .offset:         32
        .size:           8
        .value_kind:     by_value
      - .address_space:  global
        .offset:         40
        .size:           8
        .value_kind:     global_buffer
      - .offset:         48
        .size:           8
        .value_kind:     by_value
      - .address_space:  global
        .offset:         56
        .size:           8
        .value_kind:     global_buffer
      - .offset:         64
        .size:           8
        .value_kind:     by_value
      - .offset:         72
        .size:           4
        .value_kind:     by_value
      - .offset:         80
        .size:           8
        .value_kind:     by_value
    .group_segment_fixed_size: 17408
    .kernarg_segment_align: 8
    .kernarg_segment_size: 88
    .language:       OpenCL C
    .language_version:
      - 2
      - 0
    .max_flat_workgroup_size: 128
    .name:           _ZN9rocsolver6v33100L22larf_left_kernel_smallILi128E19rocblas_complex_numIfEiPS3_EEvT1_S5_T2_lS5_lPKT0_lS6_lS5_l
    .private_segment_fixed_size: 0
    .sgpr_count:     37
    .sgpr_spill_count: 0
    .symbol:         _ZN9rocsolver6v33100L22larf_left_kernel_smallILi128E19rocblas_complex_numIfEiPS3_EEvT1_S5_T2_lS5_lPKT0_lS6_lS5_l.kd
    .uniform_work_group_size: 1
    .uses_dynamic_stack: false
    .vgpr_count:     36
    .vgpr_spill_count: 0
    .wavefront_size: 32
  - .args:
      - .offset:         0
        .size:           4
        .value_kind:     by_value
      - .offset:         4
        .size:           4
        .value_kind:     by_value
      - .address_space:  global
        .offset:         8
        .size:           8
        .value_kind:     global_buffer
      - .offset:         16
        .size:           8
        .value_kind:     by_value
      - .offset:         24
        .size:           4
        .value_kind:     by_value
      - .offset:         32
        .size:           8
        .value_kind:     by_value
      - .address_space:  global
        .offset:         40
        .size:           8
        .value_kind:     global_buffer
      - .offset:         48
        .size:           8
        .value_kind:     by_value
      - .address_space:  global
        .offset:         56
        .size:           8
        .value_kind:     global_buffer
      - .offset:         64
        .size:           8
        .value_kind:     by_value
      - .offset:         72
        .size:           4
        .value_kind:     by_value
      - .offset:         80
        .size:           8
        .value_kind:     by_value
    .group_segment_fixed_size: 18432
    .kernarg_segment_align: 8
    .kernarg_segment_size: 88
    .language:       OpenCL C
    .language_version:
      - 2
      - 0
    .max_flat_workgroup_size: 256
    .name:           _ZN9rocsolver6v33100L22larf_left_kernel_smallILi256E19rocblas_complex_numIfEiPS3_EEvT1_S5_T2_lS5_lPKT0_lS6_lS5_l
    .private_segment_fixed_size: 0
    .sgpr_count:     37
    .sgpr_spill_count: 0
    .symbol:         _ZN9rocsolver6v33100L22larf_left_kernel_smallILi256E19rocblas_complex_numIfEiPS3_EEvT1_S5_T2_lS5_lPKT0_lS6_lS5_l.kd
    .uniform_work_group_size: 1
    .uses_dynamic_stack: false
    .vgpr_count:     38
    .vgpr_spill_count: 0
    .wavefront_size: 32
  - .args:
      - .offset:         0
        .size:           4
        .value_kind:     by_value
      - .offset:         4
        .size:           4
        .value_kind:     by_value
      - .address_space:  global
        .offset:         8
        .size:           8
        .value_kind:     global_buffer
      - .offset:         16
        .size:           8
        .value_kind:     by_value
      - .offset:         24
        .size:           4
        .value_kind:     by_value
      - .offset:         32
        .size:           8
        .value_kind:     by_value
      - .address_space:  global
        .offset:         40
        .size:           8
        .value_kind:     global_buffer
      - .offset:         48
        .size:           8
        .value_kind:     by_value
      - .address_space:  global
        .offset:         56
        .size:           8
        .value_kind:     global_buffer
      - .offset:         64
        .size:           8
        .value_kind:     by_value
      - .offset:         72
        .size:           4
        .value_kind:     by_value
      - .offset:         80
        .size:           8
        .value_kind:     by_value
    .group_segment_fixed_size: 20480
    .kernarg_segment_align: 8
    .kernarg_segment_size: 88
    .language:       OpenCL C
    .language_version:
      - 2
      - 0
    .max_flat_workgroup_size: 512
    .name:           _ZN9rocsolver6v33100L22larf_left_kernel_smallILi512E19rocblas_complex_numIfEiPS3_EEvT1_S5_T2_lS5_lPKT0_lS6_lS5_l
    .private_segment_fixed_size: 0
    .sgpr_count:     37
    .sgpr_spill_count: 0
    .symbol:         _ZN9rocsolver6v33100L22larf_left_kernel_smallILi512E19rocblas_complex_numIfEiPS3_EEvT1_S5_T2_lS5_lPKT0_lS6_lS5_l.kd
    .uniform_work_group_size: 1
    .uses_dynamic_stack: false
    .vgpr_count:     42
    .vgpr_spill_count: 0
    .wavefront_size: 32
  - .args:
      - .offset:         0
        .size:           4
        .value_kind:     by_value
      - .offset:         4
        .size:           4
        .value_kind:     by_value
      - .address_space:  global
        .offset:         8
        .size:           8
        .value_kind:     global_buffer
      - .offset:         16
        .size:           8
        .value_kind:     by_value
      - .offset:         24
        .size:           4
        .value_kind:     by_value
      - .offset:         32
        .size:           8
        .value_kind:     by_value
      - .address_space:  global
        .offset:         40
        .size:           8
        .value_kind:     global_buffer
      - .offset:         48
        .size:           8
        .value_kind:     by_value
      - .address_space:  global
        .offset:         56
        .size:           8
        .value_kind:     global_buffer
      - .offset:         64
        .size:           8
        .value_kind:     by_value
      - .offset:         72
        .size:           4
        .value_kind:     by_value
      - .offset:         80
        .size:           8
        .value_kind:     by_value
    .group_segment_fixed_size: 24576
    .kernarg_segment_align: 8
    .kernarg_segment_size: 88
    .language:       OpenCL C
    .language_version:
      - 2
      - 0
    .max_flat_workgroup_size: 1024
    .name:           _ZN9rocsolver6v33100L22larf_left_kernel_smallILi1024E19rocblas_complex_numIfEiPS3_EEvT1_S5_T2_lS5_lPKT0_lS6_lS5_l
    .private_segment_fixed_size: 0
    .sgpr_count:     37
    .sgpr_spill_count: 0
    .symbol:         _ZN9rocsolver6v33100L22larf_left_kernel_smallILi1024E19rocblas_complex_numIfEiPS3_EEvT1_S5_T2_lS5_lPKT0_lS6_lS5_l.kd
    .uniform_work_group_size: 1
    .uses_dynamic_stack: false
    .vgpr_count:     49
    .vgpr_spill_count: 0
    .wavefront_size: 32
  - .args:
      - .offset:         0
        .size:           4
        .value_kind:     by_value
      - .offset:         4
        .size:           4
        .value_kind:     by_value
      - .address_space:  global
        .offset:         8
        .size:           8
        .value_kind:     global_buffer
      - .offset:         16
        .size:           8
        .value_kind:     by_value
      - .offset:         24
        .size:           4
        .value_kind:     by_value
      - .offset:         32
        .size:           8
        .value_kind:     by_value
      - .address_space:  global
        .offset:         40
        .size:           8
        .value_kind:     global_buffer
      - .offset:         48
        .size:           8
        .value_kind:     by_value
      - .address_space:  global
        .offset:         56
        .size:           8
        .value_kind:     global_buffer
      - .offset:         64
        .size:           8
        .value_kind:     by_value
      - .offset:         72
        .size:           4
        .value_kind:     by_value
      - .offset:         80
        .size:           8
        .value_kind:     by_value
    .group_segment_fixed_size: 16400
    .kernarg_segment_align: 8
    .kernarg_segment_size: 88
    .language:       OpenCL C
    .language_version:
      - 2
      - 0
    .max_flat_workgroup_size: 64
    .name:           _ZN9rocsolver6v33100L23larf_right_kernel_smallILi64E19rocblas_complex_numIfEiPS3_EEvT1_S5_T2_lS5_lPKT0_lS6_lS5_l
    .private_segment_fixed_size: 0
    .sgpr_count:     28
    .sgpr_spill_count: 0
    .symbol:         _ZN9rocsolver6v33100L23larf_right_kernel_smallILi64E19rocblas_complex_numIfEiPS3_EEvT1_S5_T2_lS5_lPKT0_lS6_lS5_l.kd
    .uniform_work_group_size: 1
    .uses_dynamic_stack: false
    .vgpr_count:     22
    .vgpr_spill_count: 0
    .wavefront_size: 32
  - .args:
      - .offset:         0
        .size:           4
        .value_kind:     by_value
      - .offset:         4
        .size:           4
        .value_kind:     by_value
      - .address_space:  global
        .offset:         8
        .size:           8
        .value_kind:     global_buffer
      - .offset:         16
        .size:           8
        .value_kind:     by_value
      - .offset:         24
        .size:           4
        .value_kind:     by_value
      - .offset:         32
        .size:           8
        .value_kind:     by_value
      - .address_space:  global
        .offset:         40
        .size:           8
        .value_kind:     global_buffer
      - .offset:         48
        .size:           8
        .value_kind:     by_value
      - .address_space:  global
        .offset:         56
        .size:           8
        .value_kind:     global_buffer
      - .offset:         64
        .size:           8
        .value_kind:     by_value
      - .offset:         72
        .size:           4
        .value_kind:     by_value
      - .offset:         80
        .size:           8
        .value_kind:     by_value
    .group_segment_fixed_size: 16416
    .kernarg_segment_align: 8
    .kernarg_segment_size: 88
    .language:       OpenCL C
    .language_version:
      - 2
      - 0
    .max_flat_workgroup_size: 128
    .name:           _ZN9rocsolver6v33100L23larf_right_kernel_smallILi128E19rocblas_complex_numIfEiPS3_EEvT1_S5_T2_lS5_lPKT0_lS6_lS5_l
    .private_segment_fixed_size: 0
    .sgpr_count:     28
    .sgpr_spill_count: 0
    .symbol:         _ZN9rocsolver6v33100L23larf_right_kernel_smallILi128E19rocblas_complex_numIfEiPS3_EEvT1_S5_T2_lS5_lPKT0_lS6_lS5_l.kd
    .uniform_work_group_size: 1
    .uses_dynamic_stack: false
    .vgpr_count:     24
    .vgpr_spill_count: 0
    .wavefront_size: 32
  - .args:
      - .offset:         0
        .size:           4
        .value_kind:     by_value
      - .offset:         4
        .size:           4
        .value_kind:     by_value
      - .address_space:  global
        .offset:         8
        .size:           8
        .value_kind:     global_buffer
      - .offset:         16
        .size:           8
        .value_kind:     by_value
      - .offset:         24
        .size:           4
        .value_kind:     by_value
      - .offset:         32
        .size:           8
        .value_kind:     by_value
      - .address_space:  global
        .offset:         40
        .size:           8
        .value_kind:     global_buffer
      - .offset:         48
        .size:           8
        .value_kind:     by_value
      - .address_space:  global
        .offset:         56
        .size:           8
        .value_kind:     global_buffer
      - .offset:         64
        .size:           8
        .value_kind:     by_value
      - .offset:         72
        .size:           4
        .value_kind:     by_value
      - .offset:         80
        .size:           8
        .value_kind:     by_value
    .group_segment_fixed_size: 16448
    .kernarg_segment_align: 8
    .kernarg_segment_size: 88
    .language:       OpenCL C
    .language_version:
      - 2
      - 0
    .max_flat_workgroup_size: 256
    .name:           _ZN9rocsolver6v33100L23larf_right_kernel_smallILi256E19rocblas_complex_numIfEiPS3_EEvT1_S5_T2_lS5_lPKT0_lS6_lS5_l
    .private_segment_fixed_size: 0
    .sgpr_count:     28
    .sgpr_spill_count: 0
    .symbol:         _ZN9rocsolver6v33100L23larf_right_kernel_smallILi256E19rocblas_complex_numIfEiPS3_EEvT1_S5_T2_lS5_lPKT0_lS6_lS5_l.kd
    .uniform_work_group_size: 1
    .uses_dynamic_stack: false
    .vgpr_count:     26
    .vgpr_spill_count: 0
    .wavefront_size: 32
  - .args:
      - .offset:         0
        .size:           4
        .value_kind:     by_value
      - .offset:         4
        .size:           4
        .value_kind:     by_value
      - .address_space:  global
        .offset:         8
        .size:           8
        .value_kind:     global_buffer
      - .offset:         16
        .size:           8
        .value_kind:     by_value
      - .offset:         24
        .size:           4
        .value_kind:     by_value
      - .offset:         32
        .size:           8
        .value_kind:     by_value
      - .address_space:  global
        .offset:         40
        .size:           8
        .value_kind:     global_buffer
      - .offset:         48
        .size:           8
        .value_kind:     by_value
      - .address_space:  global
        .offset:         56
        .size:           8
        .value_kind:     global_buffer
      - .offset:         64
        .size:           8
        .value_kind:     by_value
      - .offset:         72
        .size:           4
        .value_kind:     by_value
      - .offset:         80
        .size:           8
        .value_kind:     by_value
    .group_segment_fixed_size: 16512
    .kernarg_segment_align: 8
    .kernarg_segment_size: 88
    .language:       OpenCL C
    .language_version:
      - 2
      - 0
    .max_flat_workgroup_size: 512
    .name:           _ZN9rocsolver6v33100L23larf_right_kernel_smallILi512E19rocblas_complex_numIfEiPS3_EEvT1_S5_T2_lS5_lPKT0_lS6_lS5_l
    .private_segment_fixed_size: 0
    .sgpr_count:     28
    .sgpr_spill_count: 0
    .symbol:         _ZN9rocsolver6v33100L23larf_right_kernel_smallILi512E19rocblas_complex_numIfEiPS3_EEvT1_S5_T2_lS5_lPKT0_lS6_lS5_l.kd
    .uniform_work_group_size: 1
    .uses_dynamic_stack: false
    .vgpr_count:     32
    .vgpr_spill_count: 0
    .wavefront_size: 32
  - .args:
      - .offset:         0
        .size:           4
        .value_kind:     by_value
      - .offset:         4
        .size:           4
        .value_kind:     by_value
      - .address_space:  global
        .offset:         8
        .size:           8
        .value_kind:     global_buffer
      - .offset:         16
        .size:           8
        .value_kind:     by_value
      - .offset:         24
        .size:           4
        .value_kind:     by_value
      - .offset:         32
        .size:           8
        .value_kind:     by_value
      - .address_space:  global
        .offset:         40
        .size:           8
        .value_kind:     global_buffer
      - .offset:         48
        .size:           8
        .value_kind:     by_value
      - .address_space:  global
        .offset:         56
        .size:           8
        .value_kind:     global_buffer
      - .offset:         64
        .size:           8
        .value_kind:     by_value
      - .offset:         72
        .size:           4
        .value_kind:     by_value
      - .offset:         80
        .size:           8
        .value_kind:     by_value
    .group_segment_fixed_size: 16640
    .kernarg_segment_align: 8
    .kernarg_segment_size: 88
    .language:       OpenCL C
    .language_version:
      - 2
      - 0
    .max_flat_workgroup_size: 1024
    .name:           _ZN9rocsolver6v33100L23larf_right_kernel_smallILi1024E19rocblas_complex_numIfEiPS3_EEvT1_S5_T2_lS5_lPKT0_lS6_lS5_l
    .private_segment_fixed_size: 0
    .sgpr_count:     28
    .sgpr_spill_count: 0
    .symbol:         _ZN9rocsolver6v33100L23larf_right_kernel_smallILi1024E19rocblas_complex_numIfEiPS3_EEvT1_S5_T2_lS5_lPKT0_lS6_lS5_l.kd
    .uniform_work_group_size: 1
    .uses_dynamic_stack: false
    .vgpr_count:     40
    .vgpr_spill_count: 0
    .wavefront_size: 32
  - .args:
      - .offset:         0
        .size:           4
        .value_kind:     by_value
      - .offset:         4
        .size:           4
        .value_kind:     by_value
      - .address_space:  global
        .offset:         8
        .size:           8
        .value_kind:     global_buffer
      - .offset:         16
        .size:           8
        .value_kind:     by_value
      - .offset:         24
        .size:           4
        .value_kind:     by_value
      - .offset:         32
        .size:           8
        .value_kind:     by_value
      - .address_space:  global
        .offset:         40
        .size:           8
        .value_kind:     global_buffer
      - .offset:         48
        .size:           8
        .value_kind:     by_value
      - .address_space:  global
        .offset:         56
        .size:           8
        .value_kind:     global_buffer
      - .offset:         64
        .size:           8
        .value_kind:     by_value
      - .offset:         72
        .size:           4
        .value_kind:     by_value
      - .offset:         80
        .size:           8
        .value_kind:     by_value
    .group_segment_fixed_size: 16896
    .kernarg_segment_align: 8
    .kernarg_segment_size: 88
    .language:       OpenCL C
    .language_version:
      - 2
      - 0
    .max_flat_workgroup_size: 64
    .name:           _ZN9rocsolver6v33100L22larf_left_kernel_smallILi64E19rocblas_complex_numIfEiPKPS3_EEvT1_S7_T2_lS7_lPKT0_lS8_lS7_l
    .private_segment_fixed_size: 0
    .sgpr_count:     34
    .sgpr_spill_count: 0
    .symbol:         _ZN9rocsolver6v33100L22larf_left_kernel_smallILi64E19rocblas_complex_numIfEiPKPS3_EEvT1_S7_T2_lS7_lPKT0_lS8_lS7_l.kd
    .uniform_work_group_size: 1
    .uses_dynamic_stack: false
    .vgpr_count:     35
    .vgpr_spill_count: 0
    .wavefront_size: 32
  - .args:
      - .offset:         0
        .size:           4
        .value_kind:     by_value
      - .offset:         4
        .size:           4
        .value_kind:     by_value
      - .address_space:  global
        .offset:         8
        .size:           8
        .value_kind:     global_buffer
      - .offset:         16
        .size:           8
        .value_kind:     by_value
      - .offset:         24
        .size:           4
        .value_kind:     by_value
      - .offset:         32
        .size:           8
        .value_kind:     by_value
      - .address_space:  global
        .offset:         40
        .size:           8
        .value_kind:     global_buffer
      - .offset:         48
        .size:           8
        .value_kind:     by_value
      - .address_space:  global
        .offset:         56
        .size:           8
        .value_kind:     global_buffer
      - .offset:         64
        .size:           8
        .value_kind:     by_value
      - .offset:         72
        .size:           4
        .value_kind:     by_value
      - .offset:         80
        .size:           8
        .value_kind:     by_value
    .group_segment_fixed_size: 17408
    .kernarg_segment_align: 8
    .kernarg_segment_size: 88
    .language:       OpenCL C
    .language_version:
      - 2
      - 0
    .max_flat_workgroup_size: 128
    .name:           _ZN9rocsolver6v33100L22larf_left_kernel_smallILi128E19rocblas_complex_numIfEiPKPS3_EEvT1_S7_T2_lS7_lPKT0_lS8_lS7_l
    .private_segment_fixed_size: 0
    .sgpr_count:     34
    .sgpr_spill_count: 0
    .symbol:         _ZN9rocsolver6v33100L22larf_left_kernel_smallILi128E19rocblas_complex_numIfEiPKPS3_EEvT1_S7_T2_lS7_lPKT0_lS8_lS7_l.kd
    .uniform_work_group_size: 1
    .uses_dynamic_stack: false
    .vgpr_count:     36
    .vgpr_spill_count: 0
    .wavefront_size: 32
  - .args:
      - .offset:         0
        .size:           4
        .value_kind:     by_value
      - .offset:         4
        .size:           4
        .value_kind:     by_value
      - .address_space:  global
        .offset:         8
        .size:           8
        .value_kind:     global_buffer
      - .offset:         16
        .size:           8
        .value_kind:     by_value
      - .offset:         24
        .size:           4
        .value_kind:     by_value
      - .offset:         32
        .size:           8
        .value_kind:     by_value
      - .address_space:  global
        .offset:         40
        .size:           8
        .value_kind:     global_buffer
      - .offset:         48
        .size:           8
        .value_kind:     by_value
      - .address_space:  global
        .offset:         56
        .size:           8
        .value_kind:     global_buffer
      - .offset:         64
        .size:           8
        .value_kind:     by_value
      - .offset:         72
        .size:           4
        .value_kind:     by_value
      - .offset:         80
        .size:           8
        .value_kind:     by_value
    .group_segment_fixed_size: 18432
    .kernarg_segment_align: 8
    .kernarg_segment_size: 88
    .language:       OpenCL C
    .language_version:
      - 2
      - 0
    .max_flat_workgroup_size: 256
    .name:           _ZN9rocsolver6v33100L22larf_left_kernel_smallILi256E19rocblas_complex_numIfEiPKPS3_EEvT1_S7_T2_lS7_lPKT0_lS8_lS7_l
    .private_segment_fixed_size: 0
    .sgpr_count:     34
    .sgpr_spill_count: 0
    .symbol:         _ZN9rocsolver6v33100L22larf_left_kernel_smallILi256E19rocblas_complex_numIfEiPKPS3_EEvT1_S7_T2_lS7_lPKT0_lS8_lS7_l.kd
    .uniform_work_group_size: 1
    .uses_dynamic_stack: false
    .vgpr_count:     38
    .vgpr_spill_count: 0
    .wavefront_size: 32
  - .args:
      - .offset:         0
        .size:           4
        .value_kind:     by_value
      - .offset:         4
        .size:           4
        .value_kind:     by_value
      - .address_space:  global
        .offset:         8
        .size:           8
        .value_kind:     global_buffer
      - .offset:         16
        .size:           8
        .value_kind:     by_value
      - .offset:         24
        .size:           4
        .value_kind:     by_value
      - .offset:         32
        .size:           8
        .value_kind:     by_value
      - .address_space:  global
        .offset:         40
        .size:           8
        .value_kind:     global_buffer
      - .offset:         48
        .size:           8
        .value_kind:     by_value
      - .address_space:  global
        .offset:         56
        .size:           8
        .value_kind:     global_buffer
      - .offset:         64
        .size:           8
        .value_kind:     by_value
      - .offset:         72
        .size:           4
        .value_kind:     by_value
      - .offset:         80
        .size:           8
        .value_kind:     by_value
    .group_segment_fixed_size: 20480
    .kernarg_segment_align: 8
    .kernarg_segment_size: 88
    .language:       OpenCL C
    .language_version:
      - 2
      - 0
    .max_flat_workgroup_size: 512
    .name:           _ZN9rocsolver6v33100L22larf_left_kernel_smallILi512E19rocblas_complex_numIfEiPKPS3_EEvT1_S7_T2_lS7_lPKT0_lS8_lS7_l
    .private_segment_fixed_size: 0
    .sgpr_count:     34
    .sgpr_spill_count: 0
    .symbol:         _ZN9rocsolver6v33100L22larf_left_kernel_smallILi512E19rocblas_complex_numIfEiPKPS3_EEvT1_S7_T2_lS7_lPKT0_lS8_lS7_l.kd
    .uniform_work_group_size: 1
    .uses_dynamic_stack: false
    .vgpr_count:     42
    .vgpr_spill_count: 0
    .wavefront_size: 32
  - .args:
      - .offset:         0
        .size:           4
        .value_kind:     by_value
      - .offset:         4
        .size:           4
        .value_kind:     by_value
      - .address_space:  global
        .offset:         8
        .size:           8
        .value_kind:     global_buffer
      - .offset:         16
        .size:           8
        .value_kind:     by_value
      - .offset:         24
        .size:           4
        .value_kind:     by_value
      - .offset:         32
        .size:           8
        .value_kind:     by_value
      - .address_space:  global
        .offset:         40
        .size:           8
        .value_kind:     global_buffer
      - .offset:         48
        .size:           8
        .value_kind:     by_value
      - .address_space:  global
        .offset:         56
        .size:           8
        .value_kind:     global_buffer
      - .offset:         64
        .size:           8
        .value_kind:     by_value
      - .offset:         72
        .size:           4
        .value_kind:     by_value
      - .offset:         80
        .size:           8
        .value_kind:     by_value
    .group_segment_fixed_size: 24576
    .kernarg_segment_align: 8
    .kernarg_segment_size: 88
    .language:       OpenCL C
    .language_version:
      - 2
      - 0
    .max_flat_workgroup_size: 1024
    .name:           _ZN9rocsolver6v33100L22larf_left_kernel_smallILi1024E19rocblas_complex_numIfEiPKPS3_EEvT1_S7_T2_lS7_lPKT0_lS8_lS7_l
    .private_segment_fixed_size: 0
    .sgpr_count:     34
    .sgpr_spill_count: 0
    .symbol:         _ZN9rocsolver6v33100L22larf_left_kernel_smallILi1024E19rocblas_complex_numIfEiPKPS3_EEvT1_S7_T2_lS7_lPKT0_lS8_lS7_l.kd
    .uniform_work_group_size: 1
    .uses_dynamic_stack: false
    .vgpr_count:     49
    .vgpr_spill_count: 0
    .wavefront_size: 32
  - .args:
      - .offset:         0
        .size:           4
        .value_kind:     by_value
      - .offset:         4
        .size:           4
        .value_kind:     by_value
      - .address_space:  global
        .offset:         8
        .size:           8
        .value_kind:     global_buffer
      - .offset:         16
        .size:           8
        .value_kind:     by_value
      - .offset:         24
        .size:           4
        .value_kind:     by_value
      - .offset:         32
        .size:           8
        .value_kind:     by_value
      - .address_space:  global
        .offset:         40
        .size:           8
        .value_kind:     global_buffer
      - .offset:         48
        .size:           8
        .value_kind:     by_value
      - .address_space:  global
        .offset:         56
        .size:           8
        .value_kind:     global_buffer
      - .offset:         64
        .size:           8
        .value_kind:     by_value
      - .offset:         72
        .size:           4
        .value_kind:     by_value
      - .offset:         80
        .size:           8
        .value_kind:     by_value
    .group_segment_fixed_size: 16400
    .kernarg_segment_align: 8
    .kernarg_segment_size: 88
    .language:       OpenCL C
    .language_version:
      - 2
      - 0
    .max_flat_workgroup_size: 64
    .name:           _ZN9rocsolver6v33100L23larf_right_kernel_smallILi64E19rocblas_complex_numIfEiPKPS3_EEvT1_S7_T2_lS7_lPKT0_lS8_lS7_l
    .private_segment_fixed_size: 0
    .sgpr_count:     30
    .sgpr_spill_count: 0
    .symbol:         _ZN9rocsolver6v33100L23larf_right_kernel_smallILi64E19rocblas_complex_numIfEiPKPS3_EEvT1_S7_T2_lS7_lPKT0_lS8_lS7_l.kd
    .uniform_work_group_size: 1
    .uses_dynamic_stack: false
    .vgpr_count:     22
    .vgpr_spill_count: 0
    .wavefront_size: 32
  - .args:
      - .offset:         0
        .size:           4
        .value_kind:     by_value
      - .offset:         4
        .size:           4
        .value_kind:     by_value
      - .address_space:  global
        .offset:         8
        .size:           8
        .value_kind:     global_buffer
      - .offset:         16
        .size:           8
        .value_kind:     by_value
      - .offset:         24
        .size:           4
        .value_kind:     by_value
      - .offset:         32
        .size:           8
        .value_kind:     by_value
      - .address_space:  global
        .offset:         40
        .size:           8
        .value_kind:     global_buffer
      - .offset:         48
        .size:           8
        .value_kind:     by_value
      - .address_space:  global
        .offset:         56
        .size:           8
        .value_kind:     global_buffer
      - .offset:         64
        .size:           8
        .value_kind:     by_value
      - .offset:         72
        .size:           4
        .value_kind:     by_value
      - .offset:         80
        .size:           8
        .value_kind:     by_value
    .group_segment_fixed_size: 16416
    .kernarg_segment_align: 8
    .kernarg_segment_size: 88
    .language:       OpenCL C
    .language_version:
      - 2
      - 0
    .max_flat_workgroup_size: 128
    .name:           _ZN9rocsolver6v33100L23larf_right_kernel_smallILi128E19rocblas_complex_numIfEiPKPS3_EEvT1_S7_T2_lS7_lPKT0_lS8_lS7_l
    .private_segment_fixed_size: 0
    .sgpr_count:     30
    .sgpr_spill_count: 0
    .symbol:         _ZN9rocsolver6v33100L23larf_right_kernel_smallILi128E19rocblas_complex_numIfEiPKPS3_EEvT1_S7_T2_lS7_lPKT0_lS8_lS7_l.kd
    .uniform_work_group_size: 1
    .uses_dynamic_stack: false
    .vgpr_count:     24
    .vgpr_spill_count: 0
    .wavefront_size: 32
  - .args:
      - .offset:         0
        .size:           4
        .value_kind:     by_value
      - .offset:         4
        .size:           4
        .value_kind:     by_value
      - .address_space:  global
        .offset:         8
        .size:           8
        .value_kind:     global_buffer
      - .offset:         16
        .size:           8
        .value_kind:     by_value
      - .offset:         24
        .size:           4
        .value_kind:     by_value
      - .offset:         32
        .size:           8
        .value_kind:     by_value
      - .address_space:  global
        .offset:         40
        .size:           8
        .value_kind:     global_buffer
      - .offset:         48
        .size:           8
        .value_kind:     by_value
      - .address_space:  global
        .offset:         56
        .size:           8
        .value_kind:     global_buffer
      - .offset:         64
        .size:           8
        .value_kind:     by_value
      - .offset:         72
        .size:           4
        .value_kind:     by_value
      - .offset:         80
        .size:           8
        .value_kind:     by_value
    .group_segment_fixed_size: 16448
    .kernarg_segment_align: 8
    .kernarg_segment_size: 88
    .language:       OpenCL C
    .language_version:
      - 2
      - 0
    .max_flat_workgroup_size: 256
    .name:           _ZN9rocsolver6v33100L23larf_right_kernel_smallILi256E19rocblas_complex_numIfEiPKPS3_EEvT1_S7_T2_lS7_lPKT0_lS8_lS7_l
    .private_segment_fixed_size: 0
    .sgpr_count:     30
    .sgpr_spill_count: 0
    .symbol:         _ZN9rocsolver6v33100L23larf_right_kernel_smallILi256E19rocblas_complex_numIfEiPKPS3_EEvT1_S7_T2_lS7_lPKT0_lS8_lS7_l.kd
    .uniform_work_group_size: 1
    .uses_dynamic_stack: false
    .vgpr_count:     26
    .vgpr_spill_count: 0
    .wavefront_size: 32
  - .args:
      - .offset:         0
        .size:           4
        .value_kind:     by_value
      - .offset:         4
        .size:           4
        .value_kind:     by_value
      - .address_space:  global
        .offset:         8
        .size:           8
        .value_kind:     global_buffer
      - .offset:         16
        .size:           8
        .value_kind:     by_value
      - .offset:         24
        .size:           4
        .value_kind:     by_value
      - .offset:         32
        .size:           8
        .value_kind:     by_value
      - .address_space:  global
        .offset:         40
        .size:           8
        .value_kind:     global_buffer
      - .offset:         48
        .size:           8
        .value_kind:     by_value
      - .address_space:  global
        .offset:         56
        .size:           8
        .value_kind:     global_buffer
      - .offset:         64
        .size:           8
        .value_kind:     by_value
      - .offset:         72
        .size:           4
        .value_kind:     by_value
      - .offset:         80
        .size:           8
        .value_kind:     by_value
    .group_segment_fixed_size: 16512
    .kernarg_segment_align: 8
    .kernarg_segment_size: 88
    .language:       OpenCL C
    .language_version:
      - 2
      - 0
    .max_flat_workgroup_size: 512
    .name:           _ZN9rocsolver6v33100L23larf_right_kernel_smallILi512E19rocblas_complex_numIfEiPKPS3_EEvT1_S7_T2_lS7_lPKT0_lS8_lS7_l
    .private_segment_fixed_size: 0
    .sgpr_count:     30
    .sgpr_spill_count: 0
    .symbol:         _ZN9rocsolver6v33100L23larf_right_kernel_smallILi512E19rocblas_complex_numIfEiPKPS3_EEvT1_S7_T2_lS7_lPKT0_lS8_lS7_l.kd
    .uniform_work_group_size: 1
    .uses_dynamic_stack: false
    .vgpr_count:     32
    .vgpr_spill_count: 0
    .wavefront_size: 32
  - .args:
      - .offset:         0
        .size:           4
        .value_kind:     by_value
      - .offset:         4
        .size:           4
        .value_kind:     by_value
      - .address_space:  global
        .offset:         8
        .size:           8
        .value_kind:     global_buffer
      - .offset:         16
        .size:           8
        .value_kind:     by_value
      - .offset:         24
        .size:           4
        .value_kind:     by_value
      - .offset:         32
        .size:           8
        .value_kind:     by_value
      - .address_space:  global
        .offset:         40
        .size:           8
        .value_kind:     global_buffer
      - .offset:         48
        .size:           8
        .value_kind:     by_value
      - .address_space:  global
        .offset:         56
        .size:           8
        .value_kind:     global_buffer
      - .offset:         64
        .size:           8
        .value_kind:     by_value
      - .offset:         72
        .size:           4
        .value_kind:     by_value
      - .offset:         80
        .size:           8
        .value_kind:     by_value
    .group_segment_fixed_size: 16640
    .kernarg_segment_align: 8
    .kernarg_segment_size: 88
    .language:       OpenCL C
    .language_version:
      - 2
      - 0
    .max_flat_workgroup_size: 1024
    .name:           _ZN9rocsolver6v33100L23larf_right_kernel_smallILi1024E19rocblas_complex_numIfEiPKPS3_EEvT1_S7_T2_lS7_lPKT0_lS8_lS7_l
    .private_segment_fixed_size: 0
    .sgpr_count:     30
    .sgpr_spill_count: 0
    .symbol:         _ZN9rocsolver6v33100L23larf_right_kernel_smallILi1024E19rocblas_complex_numIfEiPKPS3_EEvT1_S7_T2_lS7_lPKT0_lS8_lS7_l.kd
    .uniform_work_group_size: 1
    .uses_dynamic_stack: false
    .vgpr_count:     40
    .vgpr_spill_count: 0
    .wavefront_size: 32
  - .args:
      - .offset:         0
        .size:           8
        .value_kind:     by_value
      - .offset:         8
        .size:           8
        .value_kind:     by_value
      - .address_space:  global
        .offset:         16
        .size:           8
        .value_kind:     global_buffer
      - .offset:         24
        .size:           8
        .value_kind:     by_value
      - .offset:         32
        .size:           8
        .value_kind:     by_value
      - .offset:         40
        .size:           8
        .value_kind:     by_value
      - .address_space:  global
        .offset:         48
        .size:           8
        .value_kind:     global_buffer
      - .offset:         56
        .size:           8
        .value_kind:     by_value
      - .address_space:  global
        .offset:         64
        .size:           8
        .value_kind:     global_buffer
      - .offset:         72
        .size:           8
        .value_kind:     by_value
      - .offset:         80
        .size:           8
        .value_kind:     by_value
      - .offset:         88
        .size:           8
        .value_kind:     by_value
    .group_segment_fixed_size: 16896
    .kernarg_segment_align: 8
    .kernarg_segment_size: 96
    .language:       OpenCL C
    .language_version:
      - 2
      - 0
    .max_flat_workgroup_size: 64
    .name:           _ZN9rocsolver6v33100L22larf_left_kernel_smallILi64E19rocblas_complex_numIfElPS3_EEvT1_S5_T2_lS5_lPKT0_lS6_lS5_l
    .private_segment_fixed_size: 0
    .sgpr_count:     32
    .sgpr_spill_count: 0
    .symbol:         _ZN9rocsolver6v33100L22larf_left_kernel_smallILi64E19rocblas_complex_numIfElPS3_EEvT1_S5_T2_lS5_lPKT0_lS6_lS5_l.kd
    .uniform_work_group_size: 1
    .uses_dynamic_stack: false
    .vgpr_count:     48
    .vgpr_spill_count: 0
    .wavefront_size: 32
  - .args:
      - .offset:         0
        .size:           8
        .value_kind:     by_value
      - .offset:         8
        .size:           8
        .value_kind:     by_value
      - .address_space:  global
        .offset:         16
        .size:           8
        .value_kind:     global_buffer
      - .offset:         24
        .size:           8
        .value_kind:     by_value
      - .offset:         32
        .size:           8
        .value_kind:     by_value
      - .offset:         40
        .size:           8
        .value_kind:     by_value
      - .address_space:  global
        .offset:         48
        .size:           8
        .value_kind:     global_buffer
      - .offset:         56
        .size:           8
        .value_kind:     by_value
      - .address_space:  global
        .offset:         64
        .size:           8
        .value_kind:     global_buffer
      - .offset:         72
        .size:           8
        .value_kind:     by_value
      - .offset:         80
        .size:           8
        .value_kind:     by_value
      - .offset:         88
        .size:           8
        .value_kind:     by_value
    .group_segment_fixed_size: 17408
    .kernarg_segment_align: 8
    .kernarg_segment_size: 96
    .language:       OpenCL C
    .language_version:
      - 2
      - 0
    .max_flat_workgroup_size: 128
    .name:           _ZN9rocsolver6v33100L22larf_left_kernel_smallILi128E19rocblas_complex_numIfElPS3_EEvT1_S5_T2_lS5_lPKT0_lS6_lS5_l
    .private_segment_fixed_size: 0
    .sgpr_count:     32
    .sgpr_spill_count: 0
    .symbol:         _ZN9rocsolver6v33100L22larf_left_kernel_smallILi128E19rocblas_complex_numIfElPS3_EEvT1_S5_T2_lS5_lPKT0_lS6_lS5_l.kd
    .uniform_work_group_size: 1
    .uses_dynamic_stack: false
    .vgpr_count:     50
    .vgpr_spill_count: 0
    .wavefront_size: 32
  - .args:
      - .offset:         0
        .size:           8
        .value_kind:     by_value
      - .offset:         8
        .size:           8
        .value_kind:     by_value
      - .address_space:  global
        .offset:         16
        .size:           8
        .value_kind:     global_buffer
      - .offset:         24
        .size:           8
        .value_kind:     by_value
      - .offset:         32
        .size:           8
        .value_kind:     by_value
      - .offset:         40
        .size:           8
        .value_kind:     by_value
      - .address_space:  global
        .offset:         48
        .size:           8
        .value_kind:     global_buffer
      - .offset:         56
        .size:           8
        .value_kind:     by_value
      - .address_space:  global
        .offset:         64
        .size:           8
        .value_kind:     global_buffer
      - .offset:         72
        .size:           8
        .value_kind:     by_value
      - .offset:         80
        .size:           8
        .value_kind:     by_value
      - .offset:         88
        .size:           8
        .value_kind:     by_value
    .group_segment_fixed_size: 18432
    .kernarg_segment_align: 8
    .kernarg_segment_size: 96
    .language:       OpenCL C
    .language_version:
      - 2
      - 0
    .max_flat_workgroup_size: 256
    .name:           _ZN9rocsolver6v33100L22larf_left_kernel_smallILi256E19rocblas_complex_numIfElPS3_EEvT1_S5_T2_lS5_lPKT0_lS6_lS5_l
    .private_segment_fixed_size: 0
    .sgpr_count:     32
    .sgpr_spill_count: 0
    .symbol:         _ZN9rocsolver6v33100L22larf_left_kernel_smallILi256E19rocblas_complex_numIfElPS3_EEvT1_S5_T2_lS5_lPKT0_lS6_lS5_l.kd
    .uniform_work_group_size: 1
    .uses_dynamic_stack: false
    .vgpr_count:     52
    .vgpr_spill_count: 0
    .wavefront_size: 32
  - .args:
      - .offset:         0
        .size:           8
        .value_kind:     by_value
      - .offset:         8
        .size:           8
        .value_kind:     by_value
      - .address_space:  global
        .offset:         16
        .size:           8
        .value_kind:     global_buffer
      - .offset:         24
        .size:           8
        .value_kind:     by_value
      - .offset:         32
        .size:           8
        .value_kind:     by_value
      - .offset:         40
        .size:           8
        .value_kind:     by_value
      - .address_space:  global
        .offset:         48
        .size:           8
        .value_kind:     global_buffer
      - .offset:         56
        .size:           8
        .value_kind:     by_value
      - .address_space:  global
        .offset:         64
        .size:           8
        .value_kind:     global_buffer
      - .offset:         72
        .size:           8
        .value_kind:     by_value
      - .offset:         80
        .size:           8
        .value_kind:     by_value
      - .offset:         88
        .size:           8
        .value_kind:     by_value
    .group_segment_fixed_size: 20480
    .kernarg_segment_align: 8
    .kernarg_segment_size: 96
    .language:       OpenCL C
    .language_version:
      - 2
      - 0
    .max_flat_workgroup_size: 512
    .name:           _ZN9rocsolver6v33100L22larf_left_kernel_smallILi512E19rocblas_complex_numIfElPS3_EEvT1_S5_T2_lS5_lPKT0_lS6_lS5_l
    .private_segment_fixed_size: 0
    .sgpr_count:     32
    .sgpr_spill_count: 0
    .symbol:         _ZN9rocsolver6v33100L22larf_left_kernel_smallILi512E19rocblas_complex_numIfElPS3_EEvT1_S5_T2_lS5_lPKT0_lS6_lS5_l.kd
    .uniform_work_group_size: 1
    .uses_dynamic_stack: false
    .vgpr_count:     56
    .vgpr_spill_count: 0
    .wavefront_size: 32
  - .args:
      - .offset:         0
        .size:           8
        .value_kind:     by_value
      - .offset:         8
        .size:           8
        .value_kind:     by_value
      - .address_space:  global
        .offset:         16
        .size:           8
        .value_kind:     global_buffer
      - .offset:         24
        .size:           8
        .value_kind:     by_value
      - .offset:         32
        .size:           8
        .value_kind:     by_value
      - .offset:         40
        .size:           8
        .value_kind:     by_value
      - .address_space:  global
        .offset:         48
        .size:           8
        .value_kind:     global_buffer
      - .offset:         56
        .size:           8
        .value_kind:     by_value
      - .address_space:  global
        .offset:         64
        .size:           8
        .value_kind:     global_buffer
      - .offset:         72
        .size:           8
        .value_kind:     by_value
      - .offset:         80
        .size:           8
        .value_kind:     by_value
      - .offset:         88
        .size:           8
        .value_kind:     by_value
    .group_segment_fixed_size: 24576
    .kernarg_segment_align: 8
    .kernarg_segment_size: 96
    .language:       OpenCL C
    .language_version:
      - 2
      - 0
    .max_flat_workgroup_size: 1024
    .name:           _ZN9rocsolver6v33100L22larf_left_kernel_smallILi1024E19rocblas_complex_numIfElPS3_EEvT1_S5_T2_lS5_lPKT0_lS6_lS5_l
    .private_segment_fixed_size: 0
    .sgpr_count:     30
    .sgpr_spill_count: 0
    .symbol:         _ZN9rocsolver6v33100L22larf_left_kernel_smallILi1024E19rocblas_complex_numIfElPS3_EEvT1_S5_T2_lS5_lPKT0_lS6_lS5_l.kd
    .uniform_work_group_size: 1
    .uses_dynamic_stack: false
    .vgpr_count:     60
    .vgpr_spill_count: 0
    .wavefront_size: 32
  - .args:
      - .offset:         0
        .size:           8
        .value_kind:     by_value
      - .offset:         8
        .size:           8
        .value_kind:     by_value
      - .address_space:  global
        .offset:         16
        .size:           8
        .value_kind:     global_buffer
      - .offset:         24
        .size:           8
        .value_kind:     by_value
      - .offset:         32
        .size:           8
        .value_kind:     by_value
      - .offset:         40
        .size:           8
        .value_kind:     by_value
      - .address_space:  global
        .offset:         48
        .size:           8
        .value_kind:     global_buffer
      - .offset:         56
        .size:           8
        .value_kind:     by_value
      - .address_space:  global
        .offset:         64
        .size:           8
        .value_kind:     global_buffer
      - .offset:         72
        .size:           8
        .value_kind:     by_value
      - .offset:         80
        .size:           8
        .value_kind:     by_value
      - .offset:         88
        .size:           8
        .value_kind:     by_value
    .group_segment_fixed_size: 16400
    .kernarg_segment_align: 8
    .kernarg_segment_size: 96
    .language:       OpenCL C
    .language_version:
      - 2
      - 0
    .max_flat_workgroup_size: 64
    .name:           _ZN9rocsolver6v33100L23larf_right_kernel_smallILi64E19rocblas_complex_numIfElPS3_EEvT1_S5_T2_lS5_lPKT0_lS6_lS5_l
    .private_segment_fixed_size: 0
    .sgpr_count:     28
    .sgpr_spill_count: 0
    .symbol:         _ZN9rocsolver6v33100L23larf_right_kernel_smallILi64E19rocblas_complex_numIfElPS3_EEvT1_S5_T2_lS5_lPKT0_lS6_lS5_l.kd
    .uniform_work_group_size: 1
    .uses_dynamic_stack: false
    .vgpr_count:     28
    .vgpr_spill_count: 0
    .wavefront_size: 32
  - .args:
      - .offset:         0
        .size:           8
        .value_kind:     by_value
      - .offset:         8
        .size:           8
        .value_kind:     by_value
      - .address_space:  global
        .offset:         16
        .size:           8
        .value_kind:     global_buffer
      - .offset:         24
        .size:           8
        .value_kind:     by_value
      - .offset:         32
        .size:           8
        .value_kind:     by_value
      - .offset:         40
        .size:           8
        .value_kind:     by_value
      - .address_space:  global
        .offset:         48
        .size:           8
        .value_kind:     global_buffer
      - .offset:         56
        .size:           8
        .value_kind:     by_value
      - .address_space:  global
        .offset:         64
        .size:           8
        .value_kind:     global_buffer
      - .offset:         72
        .size:           8
        .value_kind:     by_value
      - .offset:         80
        .size:           8
        .value_kind:     by_value
      - .offset:         88
        .size:           8
        .value_kind:     by_value
    .group_segment_fixed_size: 16416
    .kernarg_segment_align: 8
    .kernarg_segment_size: 96
    .language:       OpenCL C
    .language_version:
      - 2
      - 0
    .max_flat_workgroup_size: 128
    .name:           _ZN9rocsolver6v33100L23larf_right_kernel_smallILi128E19rocblas_complex_numIfElPS3_EEvT1_S5_T2_lS5_lPKT0_lS6_lS5_l
    .private_segment_fixed_size: 0
    .sgpr_count:     28
    .sgpr_spill_count: 0
    .symbol:         _ZN9rocsolver6v33100L23larf_right_kernel_smallILi128E19rocblas_complex_numIfElPS3_EEvT1_S5_T2_lS5_lPKT0_lS6_lS5_l.kd
    .uniform_work_group_size: 1
    .uses_dynamic_stack: false
    .vgpr_count:     28
    .vgpr_spill_count: 0
    .wavefront_size: 32
  - .args:
      - .offset:         0
        .size:           8
        .value_kind:     by_value
      - .offset:         8
        .size:           8
        .value_kind:     by_value
      - .address_space:  global
        .offset:         16
        .size:           8
        .value_kind:     global_buffer
      - .offset:         24
        .size:           8
        .value_kind:     by_value
      - .offset:         32
        .size:           8
        .value_kind:     by_value
      - .offset:         40
        .size:           8
        .value_kind:     by_value
      - .address_space:  global
        .offset:         48
        .size:           8
        .value_kind:     global_buffer
      - .offset:         56
        .size:           8
        .value_kind:     by_value
      - .address_space:  global
        .offset:         64
        .size:           8
        .value_kind:     global_buffer
      - .offset:         72
        .size:           8
        .value_kind:     by_value
      - .offset:         80
        .size:           8
        .value_kind:     by_value
      - .offset:         88
        .size:           8
        .value_kind:     by_value
    .group_segment_fixed_size: 16448
    .kernarg_segment_align: 8
    .kernarg_segment_size: 96
    .language:       OpenCL C
    .language_version:
      - 2
      - 0
    .max_flat_workgroup_size: 256
    .name:           _ZN9rocsolver6v33100L23larf_right_kernel_smallILi256E19rocblas_complex_numIfElPS3_EEvT1_S5_T2_lS5_lPKT0_lS6_lS5_l
    .private_segment_fixed_size: 0
    .sgpr_count:     28
    .sgpr_spill_count: 0
    .symbol:         _ZN9rocsolver6v33100L23larf_right_kernel_smallILi256E19rocblas_complex_numIfElPS3_EEvT1_S5_T2_lS5_lPKT0_lS6_lS5_l.kd
    .uniform_work_group_size: 1
    .uses_dynamic_stack: false
    .vgpr_count:     30
    .vgpr_spill_count: 0
    .wavefront_size: 32
  - .args:
      - .offset:         0
        .size:           8
        .value_kind:     by_value
      - .offset:         8
        .size:           8
        .value_kind:     by_value
      - .address_space:  global
        .offset:         16
        .size:           8
        .value_kind:     global_buffer
      - .offset:         24
        .size:           8
        .value_kind:     by_value
      - .offset:         32
        .size:           8
        .value_kind:     by_value
      - .offset:         40
        .size:           8
        .value_kind:     by_value
      - .address_space:  global
        .offset:         48
        .size:           8
        .value_kind:     global_buffer
      - .offset:         56
        .size:           8
        .value_kind:     by_value
      - .address_space:  global
        .offset:         64
        .size:           8
        .value_kind:     global_buffer
      - .offset:         72
        .size:           8
        .value_kind:     by_value
      - .offset:         80
        .size:           8
        .value_kind:     by_value
      - .offset:         88
        .size:           8
        .value_kind:     by_value
    .group_segment_fixed_size: 16512
    .kernarg_segment_align: 8
    .kernarg_segment_size: 96
    .language:       OpenCL C
    .language_version:
      - 2
      - 0
    .max_flat_workgroup_size: 512
    .name:           _ZN9rocsolver6v33100L23larf_right_kernel_smallILi512E19rocblas_complex_numIfElPS3_EEvT1_S5_T2_lS5_lPKT0_lS6_lS5_l
    .private_segment_fixed_size: 0
    .sgpr_count:     28
    .sgpr_spill_count: 0
    .symbol:         _ZN9rocsolver6v33100L23larf_right_kernel_smallILi512E19rocblas_complex_numIfElPS3_EEvT1_S5_T2_lS5_lPKT0_lS6_lS5_l.kd
    .uniform_work_group_size: 1
    .uses_dynamic_stack: false
    .vgpr_count:     34
    .vgpr_spill_count: 0
    .wavefront_size: 32
  - .args:
      - .offset:         0
        .size:           8
        .value_kind:     by_value
      - .offset:         8
        .size:           8
        .value_kind:     by_value
      - .address_space:  global
        .offset:         16
        .size:           8
        .value_kind:     global_buffer
      - .offset:         24
        .size:           8
        .value_kind:     by_value
      - .offset:         32
        .size:           8
        .value_kind:     by_value
      - .offset:         40
        .size:           8
        .value_kind:     by_value
      - .address_space:  global
        .offset:         48
        .size:           8
        .value_kind:     global_buffer
      - .offset:         56
        .size:           8
        .value_kind:     by_value
      - .address_space:  global
        .offset:         64
        .size:           8
        .value_kind:     global_buffer
      - .offset:         72
        .size:           8
        .value_kind:     by_value
      - .offset:         80
        .size:           8
        .value_kind:     by_value
      - .offset:         88
        .size:           8
        .value_kind:     by_value
    .group_segment_fixed_size: 16640
    .kernarg_segment_align: 8
    .kernarg_segment_size: 96
    .language:       OpenCL C
    .language_version:
      - 2
      - 0
    .max_flat_workgroup_size: 1024
    .name:           _ZN9rocsolver6v33100L23larf_right_kernel_smallILi1024E19rocblas_complex_numIfElPS3_EEvT1_S5_T2_lS5_lPKT0_lS6_lS5_l
    .private_segment_fixed_size: 0
    .sgpr_count:     28
    .sgpr_spill_count: 0
    .symbol:         _ZN9rocsolver6v33100L23larf_right_kernel_smallILi1024E19rocblas_complex_numIfElPS3_EEvT1_S5_T2_lS5_lPKT0_lS6_lS5_l.kd
    .uniform_work_group_size: 1
    .uses_dynamic_stack: false
    .vgpr_count:     42
    .vgpr_spill_count: 0
    .wavefront_size: 32
  - .args:
      - .offset:         0
        .size:           8
        .value_kind:     by_value
      - .offset:         8
        .size:           8
        .value_kind:     by_value
      - .address_space:  global
        .offset:         16
        .size:           8
        .value_kind:     global_buffer
      - .offset:         24
        .size:           8
        .value_kind:     by_value
      - .offset:         32
        .size:           8
        .value_kind:     by_value
      - .offset:         40
        .size:           8
        .value_kind:     by_value
      - .address_space:  global
        .offset:         48
        .size:           8
        .value_kind:     global_buffer
      - .offset:         56
        .size:           8
        .value_kind:     by_value
      - .address_space:  global
        .offset:         64
        .size:           8
        .value_kind:     global_buffer
      - .offset:         72
        .size:           8
        .value_kind:     by_value
      - .offset:         80
        .size:           8
        .value_kind:     by_value
      - .offset:         88
        .size:           8
        .value_kind:     by_value
    .group_segment_fixed_size: 16896
    .kernarg_segment_align: 8
    .kernarg_segment_size: 96
    .language:       OpenCL C
    .language_version:
      - 2
      - 0
    .max_flat_workgroup_size: 64
    .name:           _ZN9rocsolver6v33100L22larf_left_kernel_smallILi64E19rocblas_complex_numIfElPKPS3_EEvT1_S7_T2_lS7_lPKT0_lS8_lS7_l
    .private_segment_fixed_size: 0
    .sgpr_count:     30
    .sgpr_spill_count: 0
    .symbol:         _ZN9rocsolver6v33100L22larf_left_kernel_smallILi64E19rocblas_complex_numIfElPKPS3_EEvT1_S7_T2_lS7_lPKT0_lS8_lS7_l.kd
    .uniform_work_group_size: 1
    .uses_dynamic_stack: false
    .vgpr_count:     48
    .vgpr_spill_count: 0
    .wavefront_size: 32
  - .args:
      - .offset:         0
        .size:           8
        .value_kind:     by_value
      - .offset:         8
        .size:           8
        .value_kind:     by_value
      - .address_space:  global
        .offset:         16
        .size:           8
        .value_kind:     global_buffer
      - .offset:         24
        .size:           8
        .value_kind:     by_value
      - .offset:         32
        .size:           8
        .value_kind:     by_value
      - .offset:         40
        .size:           8
        .value_kind:     by_value
      - .address_space:  global
        .offset:         48
        .size:           8
        .value_kind:     global_buffer
      - .offset:         56
        .size:           8
        .value_kind:     by_value
      - .address_space:  global
        .offset:         64
        .size:           8
        .value_kind:     global_buffer
      - .offset:         72
        .size:           8
        .value_kind:     by_value
      - .offset:         80
        .size:           8
        .value_kind:     by_value
      - .offset:         88
        .size:           8
        .value_kind:     by_value
    .group_segment_fixed_size: 17408
    .kernarg_segment_align: 8
    .kernarg_segment_size: 96
    .language:       OpenCL C
    .language_version:
      - 2
      - 0
    .max_flat_workgroup_size: 128
    .name:           _ZN9rocsolver6v33100L22larf_left_kernel_smallILi128E19rocblas_complex_numIfElPKPS3_EEvT1_S7_T2_lS7_lPKT0_lS8_lS7_l
    .private_segment_fixed_size: 0
    .sgpr_count:     30
    .sgpr_spill_count: 0
    .symbol:         _ZN9rocsolver6v33100L22larf_left_kernel_smallILi128E19rocblas_complex_numIfElPKPS3_EEvT1_S7_T2_lS7_lPKT0_lS8_lS7_l.kd
    .uniform_work_group_size: 1
    .uses_dynamic_stack: false
    .vgpr_count:     50
    .vgpr_spill_count: 0
    .wavefront_size: 32
  - .args:
      - .offset:         0
        .size:           8
        .value_kind:     by_value
      - .offset:         8
        .size:           8
        .value_kind:     by_value
      - .address_space:  global
        .offset:         16
        .size:           8
        .value_kind:     global_buffer
      - .offset:         24
        .size:           8
        .value_kind:     by_value
      - .offset:         32
        .size:           8
        .value_kind:     by_value
      - .offset:         40
        .size:           8
        .value_kind:     by_value
      - .address_space:  global
        .offset:         48
        .size:           8
        .value_kind:     global_buffer
      - .offset:         56
        .size:           8
        .value_kind:     by_value
      - .address_space:  global
        .offset:         64
        .size:           8
        .value_kind:     global_buffer
      - .offset:         72
        .size:           8
        .value_kind:     by_value
      - .offset:         80
        .size:           8
        .value_kind:     by_value
      - .offset:         88
        .size:           8
        .value_kind:     by_value
    .group_segment_fixed_size: 18432
    .kernarg_segment_align: 8
    .kernarg_segment_size: 96
    .language:       OpenCL C
    .language_version:
      - 2
      - 0
    .max_flat_workgroup_size: 256
    .name:           _ZN9rocsolver6v33100L22larf_left_kernel_smallILi256E19rocblas_complex_numIfElPKPS3_EEvT1_S7_T2_lS7_lPKT0_lS8_lS7_l
    .private_segment_fixed_size: 0
    .sgpr_count:     30
    .sgpr_spill_count: 0
    .symbol:         _ZN9rocsolver6v33100L22larf_left_kernel_smallILi256E19rocblas_complex_numIfElPKPS3_EEvT1_S7_T2_lS7_lPKT0_lS8_lS7_l.kd
    .uniform_work_group_size: 1
    .uses_dynamic_stack: false
    .vgpr_count:     52
    .vgpr_spill_count: 0
    .wavefront_size: 32
  - .args:
      - .offset:         0
        .size:           8
        .value_kind:     by_value
      - .offset:         8
        .size:           8
        .value_kind:     by_value
      - .address_space:  global
        .offset:         16
        .size:           8
        .value_kind:     global_buffer
      - .offset:         24
        .size:           8
        .value_kind:     by_value
      - .offset:         32
        .size:           8
        .value_kind:     by_value
      - .offset:         40
        .size:           8
        .value_kind:     by_value
      - .address_space:  global
        .offset:         48
        .size:           8
        .value_kind:     global_buffer
      - .offset:         56
        .size:           8
        .value_kind:     by_value
      - .address_space:  global
        .offset:         64
        .size:           8
        .value_kind:     global_buffer
      - .offset:         72
        .size:           8
        .value_kind:     by_value
      - .offset:         80
        .size:           8
        .value_kind:     by_value
      - .offset:         88
        .size:           8
        .value_kind:     by_value
    .group_segment_fixed_size: 20480
    .kernarg_segment_align: 8
    .kernarg_segment_size: 96
    .language:       OpenCL C
    .language_version:
      - 2
      - 0
    .max_flat_workgroup_size: 512
    .name:           _ZN9rocsolver6v33100L22larf_left_kernel_smallILi512E19rocblas_complex_numIfElPKPS3_EEvT1_S7_T2_lS7_lPKT0_lS8_lS7_l
    .private_segment_fixed_size: 0
    .sgpr_count:     30
    .sgpr_spill_count: 0
    .symbol:         _ZN9rocsolver6v33100L22larf_left_kernel_smallILi512E19rocblas_complex_numIfElPKPS3_EEvT1_S7_T2_lS7_lPKT0_lS8_lS7_l.kd
    .uniform_work_group_size: 1
    .uses_dynamic_stack: false
    .vgpr_count:     56
    .vgpr_spill_count: 0
    .wavefront_size: 32
  - .args:
      - .offset:         0
        .size:           8
        .value_kind:     by_value
      - .offset:         8
        .size:           8
        .value_kind:     by_value
      - .address_space:  global
        .offset:         16
        .size:           8
        .value_kind:     global_buffer
      - .offset:         24
        .size:           8
        .value_kind:     by_value
      - .offset:         32
        .size:           8
        .value_kind:     by_value
      - .offset:         40
        .size:           8
        .value_kind:     by_value
      - .address_space:  global
        .offset:         48
        .size:           8
        .value_kind:     global_buffer
      - .offset:         56
        .size:           8
        .value_kind:     by_value
      - .address_space:  global
        .offset:         64
        .size:           8
        .value_kind:     global_buffer
      - .offset:         72
        .size:           8
        .value_kind:     by_value
      - .offset:         80
        .size:           8
        .value_kind:     by_value
      - .offset:         88
        .size:           8
        .value_kind:     by_value
    .group_segment_fixed_size: 24576
    .kernarg_segment_align: 8
    .kernarg_segment_size: 96
    .language:       OpenCL C
    .language_version:
      - 2
      - 0
    .max_flat_workgroup_size: 1024
    .name:           _ZN9rocsolver6v33100L22larf_left_kernel_smallILi1024E19rocblas_complex_numIfElPKPS3_EEvT1_S7_T2_lS7_lPKT0_lS8_lS7_l
    .private_segment_fixed_size: 0
    .sgpr_count:     30
    .sgpr_spill_count: 0
    .symbol:         _ZN9rocsolver6v33100L22larf_left_kernel_smallILi1024E19rocblas_complex_numIfElPKPS3_EEvT1_S7_T2_lS7_lPKT0_lS8_lS7_l.kd
    .uniform_work_group_size: 1
    .uses_dynamic_stack: false
    .vgpr_count:     60
    .vgpr_spill_count: 0
    .wavefront_size: 32
  - .args:
      - .offset:         0
        .size:           8
        .value_kind:     by_value
      - .offset:         8
        .size:           8
        .value_kind:     by_value
      - .address_space:  global
        .offset:         16
        .size:           8
        .value_kind:     global_buffer
      - .offset:         24
        .size:           8
        .value_kind:     by_value
      - .offset:         32
        .size:           8
        .value_kind:     by_value
      - .offset:         40
        .size:           8
        .value_kind:     by_value
      - .address_space:  global
        .offset:         48
        .size:           8
        .value_kind:     global_buffer
      - .offset:         56
        .size:           8
        .value_kind:     by_value
      - .address_space:  global
        .offset:         64
        .size:           8
        .value_kind:     global_buffer
      - .offset:         72
        .size:           8
        .value_kind:     by_value
      - .offset:         80
        .size:           8
        .value_kind:     by_value
      - .offset:         88
        .size:           8
        .value_kind:     by_value
    .group_segment_fixed_size: 16400
    .kernarg_segment_align: 8
    .kernarg_segment_size: 96
    .language:       OpenCL C
    .language_version:
      - 2
      - 0
    .max_flat_workgroup_size: 64
    .name:           _ZN9rocsolver6v33100L23larf_right_kernel_smallILi64E19rocblas_complex_numIfElPKPS3_EEvT1_S7_T2_lS7_lPKT0_lS8_lS7_l
    .private_segment_fixed_size: 0
    .sgpr_count:     29
    .sgpr_spill_count: 0
    .symbol:         _ZN9rocsolver6v33100L23larf_right_kernel_smallILi64E19rocblas_complex_numIfElPKPS3_EEvT1_S7_T2_lS7_lPKT0_lS8_lS7_l.kd
    .uniform_work_group_size: 1
    .uses_dynamic_stack: false
    .vgpr_count:     28
    .vgpr_spill_count: 0
    .wavefront_size: 32
  - .args:
      - .offset:         0
        .size:           8
        .value_kind:     by_value
      - .offset:         8
        .size:           8
        .value_kind:     by_value
      - .address_space:  global
        .offset:         16
        .size:           8
        .value_kind:     global_buffer
      - .offset:         24
        .size:           8
        .value_kind:     by_value
      - .offset:         32
        .size:           8
        .value_kind:     by_value
      - .offset:         40
        .size:           8
        .value_kind:     by_value
      - .address_space:  global
        .offset:         48
        .size:           8
        .value_kind:     global_buffer
      - .offset:         56
        .size:           8
        .value_kind:     by_value
      - .address_space:  global
        .offset:         64
        .size:           8
        .value_kind:     global_buffer
      - .offset:         72
        .size:           8
        .value_kind:     by_value
      - .offset:         80
        .size:           8
        .value_kind:     by_value
      - .offset:         88
        .size:           8
        .value_kind:     by_value
    .group_segment_fixed_size: 16416
    .kernarg_segment_align: 8
    .kernarg_segment_size: 96
    .language:       OpenCL C
    .language_version:
      - 2
      - 0
    .max_flat_workgroup_size: 128
    .name:           _ZN9rocsolver6v33100L23larf_right_kernel_smallILi128E19rocblas_complex_numIfElPKPS3_EEvT1_S7_T2_lS7_lPKT0_lS8_lS7_l
    .private_segment_fixed_size: 0
    .sgpr_count:     29
    .sgpr_spill_count: 0
    .symbol:         _ZN9rocsolver6v33100L23larf_right_kernel_smallILi128E19rocblas_complex_numIfElPKPS3_EEvT1_S7_T2_lS7_lPKT0_lS8_lS7_l.kd
    .uniform_work_group_size: 1
    .uses_dynamic_stack: false
    .vgpr_count:     28
    .vgpr_spill_count: 0
    .wavefront_size: 32
  - .args:
      - .offset:         0
        .size:           8
        .value_kind:     by_value
      - .offset:         8
        .size:           8
        .value_kind:     by_value
      - .address_space:  global
        .offset:         16
        .size:           8
        .value_kind:     global_buffer
      - .offset:         24
        .size:           8
        .value_kind:     by_value
      - .offset:         32
        .size:           8
        .value_kind:     by_value
      - .offset:         40
        .size:           8
        .value_kind:     by_value
      - .address_space:  global
        .offset:         48
        .size:           8
        .value_kind:     global_buffer
      - .offset:         56
        .size:           8
        .value_kind:     by_value
      - .address_space:  global
        .offset:         64
        .size:           8
        .value_kind:     global_buffer
      - .offset:         72
        .size:           8
        .value_kind:     by_value
      - .offset:         80
        .size:           8
        .value_kind:     by_value
      - .offset:         88
        .size:           8
        .value_kind:     by_value
    .group_segment_fixed_size: 16448
    .kernarg_segment_align: 8
    .kernarg_segment_size: 96
    .language:       OpenCL C
    .language_version:
      - 2
      - 0
    .max_flat_workgroup_size: 256
    .name:           _ZN9rocsolver6v33100L23larf_right_kernel_smallILi256E19rocblas_complex_numIfElPKPS3_EEvT1_S7_T2_lS7_lPKT0_lS8_lS7_l
    .private_segment_fixed_size: 0
    .sgpr_count:     29
    .sgpr_spill_count: 0
    .symbol:         _ZN9rocsolver6v33100L23larf_right_kernel_smallILi256E19rocblas_complex_numIfElPKPS3_EEvT1_S7_T2_lS7_lPKT0_lS8_lS7_l.kd
    .uniform_work_group_size: 1
    .uses_dynamic_stack: false
    .vgpr_count:     30
    .vgpr_spill_count: 0
    .wavefront_size: 32
  - .args:
      - .offset:         0
        .size:           8
        .value_kind:     by_value
      - .offset:         8
        .size:           8
        .value_kind:     by_value
      - .address_space:  global
        .offset:         16
        .size:           8
        .value_kind:     global_buffer
      - .offset:         24
        .size:           8
        .value_kind:     by_value
      - .offset:         32
        .size:           8
        .value_kind:     by_value
      - .offset:         40
        .size:           8
        .value_kind:     by_value
      - .address_space:  global
        .offset:         48
        .size:           8
        .value_kind:     global_buffer
      - .offset:         56
        .size:           8
        .value_kind:     by_value
      - .address_space:  global
        .offset:         64
        .size:           8
        .value_kind:     global_buffer
      - .offset:         72
        .size:           8
        .value_kind:     by_value
      - .offset:         80
        .size:           8
        .value_kind:     by_value
      - .offset:         88
        .size:           8
        .value_kind:     by_value
    .group_segment_fixed_size: 16512
    .kernarg_segment_align: 8
    .kernarg_segment_size: 96
    .language:       OpenCL C
    .language_version:
      - 2
      - 0
    .max_flat_workgroup_size: 512
    .name:           _ZN9rocsolver6v33100L23larf_right_kernel_smallILi512E19rocblas_complex_numIfElPKPS3_EEvT1_S7_T2_lS7_lPKT0_lS8_lS7_l
    .private_segment_fixed_size: 0
    .sgpr_count:     29
    .sgpr_spill_count: 0
    .symbol:         _ZN9rocsolver6v33100L23larf_right_kernel_smallILi512E19rocblas_complex_numIfElPKPS3_EEvT1_S7_T2_lS7_lPKT0_lS8_lS7_l.kd
    .uniform_work_group_size: 1
    .uses_dynamic_stack: false
    .vgpr_count:     34
    .vgpr_spill_count: 0
    .wavefront_size: 32
  - .args:
      - .offset:         0
        .size:           8
        .value_kind:     by_value
      - .offset:         8
        .size:           8
        .value_kind:     by_value
      - .address_space:  global
        .offset:         16
        .size:           8
        .value_kind:     global_buffer
      - .offset:         24
        .size:           8
        .value_kind:     by_value
      - .offset:         32
        .size:           8
        .value_kind:     by_value
      - .offset:         40
        .size:           8
        .value_kind:     by_value
      - .address_space:  global
        .offset:         48
        .size:           8
        .value_kind:     global_buffer
      - .offset:         56
        .size:           8
        .value_kind:     by_value
      - .address_space:  global
        .offset:         64
        .size:           8
        .value_kind:     global_buffer
      - .offset:         72
        .size:           8
        .value_kind:     by_value
      - .offset:         80
        .size:           8
        .value_kind:     by_value
      - .offset:         88
        .size:           8
        .value_kind:     by_value
    .group_segment_fixed_size: 16640
    .kernarg_segment_align: 8
    .kernarg_segment_size: 96
    .language:       OpenCL C
    .language_version:
      - 2
      - 0
    .max_flat_workgroup_size: 1024
    .name:           _ZN9rocsolver6v33100L23larf_right_kernel_smallILi1024E19rocblas_complex_numIfElPKPS3_EEvT1_S7_T2_lS7_lPKT0_lS8_lS7_l
    .private_segment_fixed_size: 0
    .sgpr_count:     29
    .sgpr_spill_count: 0
    .symbol:         _ZN9rocsolver6v33100L23larf_right_kernel_smallILi1024E19rocblas_complex_numIfElPKPS3_EEvT1_S7_T2_lS7_lPKT0_lS8_lS7_l.kd
    .uniform_work_group_size: 1
    .uses_dynamic_stack: false
    .vgpr_count:     42
    .vgpr_spill_count: 0
    .wavefront_size: 32
amdhsa.target:   amdgcn-amd-amdhsa--gfx1250
amdhsa.version:
  - 1
  - 2
...

	.end_amdgpu_metadata
